;; amdgpu-corpus repo=ROCm/rocThrust kind=compiled arch=gfx1100 opt=O3
	.text
	.amdgcn_target "amdgcn-amd-amdhsa--gfx1100"
	.amdhsa_code_object_version 6
	.section	.text._ZN6thrust23THRUST_200600_302600_NS11hip_rocprim14__parallel_for6kernelILj256ENS1_20__uninitialized_fill7functorINS0_10device_ptrIcEEcEEmLj1EEEvT0_T1_SA_,"axG",@progbits,_ZN6thrust23THRUST_200600_302600_NS11hip_rocprim14__parallel_for6kernelILj256ENS1_20__uninitialized_fill7functorINS0_10device_ptrIcEEcEEmLj1EEEvT0_T1_SA_,comdat
	.protected	_ZN6thrust23THRUST_200600_302600_NS11hip_rocprim14__parallel_for6kernelILj256ENS1_20__uninitialized_fill7functorINS0_10device_ptrIcEEcEEmLj1EEEvT0_T1_SA_ ; -- Begin function _ZN6thrust23THRUST_200600_302600_NS11hip_rocprim14__parallel_for6kernelILj256ENS1_20__uninitialized_fill7functorINS0_10device_ptrIcEEcEEmLj1EEEvT0_T1_SA_
	.globl	_ZN6thrust23THRUST_200600_302600_NS11hip_rocprim14__parallel_for6kernelILj256ENS1_20__uninitialized_fill7functorINS0_10device_ptrIcEEcEEmLj1EEEvT0_T1_SA_
	.p2align	8
	.type	_ZN6thrust23THRUST_200600_302600_NS11hip_rocprim14__parallel_for6kernelILj256ENS1_20__uninitialized_fill7functorINS0_10device_ptrIcEEcEEmLj1EEEvT0_T1_SA_,@function
_ZN6thrust23THRUST_200600_302600_NS11hip_rocprim14__parallel_for6kernelILj256ENS1_20__uninitialized_fill7functorINS0_10device_ptrIcEEcEEmLj1EEEvT0_T1_SA_: ; @_ZN6thrust23THRUST_200600_302600_NS11hip_rocprim14__parallel_for6kernelILj256ENS1_20__uninitialized_fill7functorINS0_10device_ptrIcEEcEEmLj1EEEvT0_T1_SA_
; %bb.0:
	s_load_b128 s[8:11], s[0:1], 0x10
	s_lshl_b32 s2, s15, 8
	s_waitcnt lgkmcnt(0)
	s_add_u32 s4, s2, s10
	s_addc_u32 s5, 0, s11
	s_sub_u32 s2, s8, s4
	s_subb_u32 s3, s9, s5
	s_delay_alu instid0(SALU_CYCLE_1) | instskip(NEXT) | instid1(VALU_DEP_1)
	v_cmp_gt_u64_e64 s3, 0x100, s[2:3]
	s_and_b32 vcc_lo, exec_lo, s3
	s_mov_b32 s3, 0
	s_cbranch_vccz .LBB0_2
; %bb.1:
	v_cmp_gt_u32_e32 vcc_lo, s2, v0
	s_and_b32 s3, vcc_lo, exec_lo
	s_cbranch_execz .LBB0_3
	s_branch .LBB0_4
.LBB0_2:
.LBB0_3:
	s_or_b32 s3, s3, exec_lo
.LBB0_4:
	s_delay_alu instid0(SALU_CYCLE_1)
	s_and_saveexec_b32 s2, s3
	s_cbranch_execnz .LBB0_6
; %bb.5:
	s_endpgm
.LBB0_6:
	s_clause 0x1
	s_load_b64 s[2:3], s[0:1], 0x0
	s_load_b32 s0, s[0:1], 0x8
	s_waitcnt lgkmcnt(0)
	s_add_u32 s1, s2, s4
	s_addc_u32 s2, s3, s5
	v_add_co_u32 v0, s1, s1, v0
	s_delay_alu instid0(VALU_DEP_1)
	v_add_co_ci_u32_e64 v1, null, s2, 0, s1
	v_mov_b32_e32 v2, s0
	flat_store_b8 v[0:1], v2
	s_endpgm
	.section	.rodata,"a",@progbits
	.p2align	6, 0x0
	.amdhsa_kernel _ZN6thrust23THRUST_200600_302600_NS11hip_rocprim14__parallel_for6kernelILj256ENS1_20__uninitialized_fill7functorINS0_10device_ptrIcEEcEEmLj1EEEvT0_T1_SA_
		.amdhsa_group_segment_fixed_size 0
		.amdhsa_private_segment_fixed_size 0
		.amdhsa_kernarg_size 32
		.amdhsa_user_sgpr_count 15
		.amdhsa_user_sgpr_dispatch_ptr 0
		.amdhsa_user_sgpr_queue_ptr 0
		.amdhsa_user_sgpr_kernarg_segment_ptr 1
		.amdhsa_user_sgpr_dispatch_id 0
		.amdhsa_user_sgpr_private_segment_size 0
		.amdhsa_wavefront_size32 1
		.amdhsa_uses_dynamic_stack 0
		.amdhsa_enable_private_segment 0
		.amdhsa_system_sgpr_workgroup_id_x 1
		.amdhsa_system_sgpr_workgroup_id_y 0
		.amdhsa_system_sgpr_workgroup_id_z 0
		.amdhsa_system_sgpr_workgroup_info 0
		.amdhsa_system_vgpr_workitem_id 0
		.amdhsa_next_free_vgpr 3
		.amdhsa_next_free_sgpr 16
		.amdhsa_reserve_vcc 1
		.amdhsa_float_round_mode_32 0
		.amdhsa_float_round_mode_16_64 0
		.amdhsa_float_denorm_mode_32 3
		.amdhsa_float_denorm_mode_16_64 3
		.amdhsa_dx10_clamp 1
		.amdhsa_ieee_mode 1
		.amdhsa_fp16_overflow 0
		.amdhsa_workgroup_processor_mode 1
		.amdhsa_memory_ordered 1
		.amdhsa_forward_progress 0
		.amdhsa_shared_vgpr_count 0
		.amdhsa_exception_fp_ieee_invalid_op 0
		.amdhsa_exception_fp_denorm_src 0
		.amdhsa_exception_fp_ieee_div_zero 0
		.amdhsa_exception_fp_ieee_overflow 0
		.amdhsa_exception_fp_ieee_underflow 0
		.amdhsa_exception_fp_ieee_inexact 0
		.amdhsa_exception_int_div_zero 0
	.end_amdhsa_kernel
	.section	.text._ZN6thrust23THRUST_200600_302600_NS11hip_rocprim14__parallel_for6kernelILj256ENS1_20__uninitialized_fill7functorINS0_10device_ptrIcEEcEEmLj1EEEvT0_T1_SA_,"axG",@progbits,_ZN6thrust23THRUST_200600_302600_NS11hip_rocprim14__parallel_for6kernelILj256ENS1_20__uninitialized_fill7functorINS0_10device_ptrIcEEcEEmLj1EEEvT0_T1_SA_,comdat
.Lfunc_end0:
	.size	_ZN6thrust23THRUST_200600_302600_NS11hip_rocprim14__parallel_for6kernelILj256ENS1_20__uninitialized_fill7functorINS0_10device_ptrIcEEcEEmLj1EEEvT0_T1_SA_, .Lfunc_end0-_ZN6thrust23THRUST_200600_302600_NS11hip_rocprim14__parallel_for6kernelILj256ENS1_20__uninitialized_fill7functorINS0_10device_ptrIcEEcEEmLj1EEEvT0_T1_SA_
                                        ; -- End function
	.section	.AMDGPU.csdata,"",@progbits
; Kernel info:
; codeLenInByte = 164
; NumSgprs: 18
; NumVgprs: 3
; ScratchSize: 0
; MemoryBound: 0
; FloatMode: 240
; IeeeMode: 1
; LDSByteSize: 0 bytes/workgroup (compile time only)
; SGPRBlocks: 2
; VGPRBlocks: 0
; NumSGPRsForWavesPerEU: 18
; NumVGPRsForWavesPerEU: 3
; Occupancy: 16
; WaveLimiterHint : 0
; COMPUTE_PGM_RSRC2:SCRATCH_EN: 0
; COMPUTE_PGM_RSRC2:USER_SGPR: 15
; COMPUTE_PGM_RSRC2:TRAP_HANDLER: 0
; COMPUTE_PGM_RSRC2:TGID_X_EN: 1
; COMPUTE_PGM_RSRC2:TGID_Y_EN: 0
; COMPUTE_PGM_RSRC2:TGID_Z_EN: 0
; COMPUTE_PGM_RSRC2:TIDIG_COMP_CNT: 0
	.section	.text._ZN6thrust23THRUST_200600_302600_NS11hip_rocprim14__parallel_for6kernelILj256ENS1_20__uninitialized_fill7functorINS0_10device_ptrIiEEiEEmLj1EEEvT0_T1_SA_,"axG",@progbits,_ZN6thrust23THRUST_200600_302600_NS11hip_rocprim14__parallel_for6kernelILj256ENS1_20__uninitialized_fill7functorINS0_10device_ptrIiEEiEEmLj1EEEvT0_T1_SA_,comdat
	.protected	_ZN6thrust23THRUST_200600_302600_NS11hip_rocprim14__parallel_for6kernelILj256ENS1_20__uninitialized_fill7functorINS0_10device_ptrIiEEiEEmLj1EEEvT0_T1_SA_ ; -- Begin function _ZN6thrust23THRUST_200600_302600_NS11hip_rocprim14__parallel_for6kernelILj256ENS1_20__uninitialized_fill7functorINS0_10device_ptrIiEEiEEmLj1EEEvT0_T1_SA_
	.globl	_ZN6thrust23THRUST_200600_302600_NS11hip_rocprim14__parallel_for6kernelILj256ENS1_20__uninitialized_fill7functorINS0_10device_ptrIiEEiEEmLj1EEEvT0_T1_SA_
	.p2align	8
	.type	_ZN6thrust23THRUST_200600_302600_NS11hip_rocprim14__parallel_for6kernelILj256ENS1_20__uninitialized_fill7functorINS0_10device_ptrIiEEiEEmLj1EEEvT0_T1_SA_,@function
_ZN6thrust23THRUST_200600_302600_NS11hip_rocprim14__parallel_for6kernelILj256ENS1_20__uninitialized_fill7functorINS0_10device_ptrIiEEiEEmLj1EEEvT0_T1_SA_: ; @_ZN6thrust23THRUST_200600_302600_NS11hip_rocprim14__parallel_for6kernelILj256ENS1_20__uninitialized_fill7functorINS0_10device_ptrIiEEiEEmLj1EEEvT0_T1_SA_
; %bb.0:
	s_load_b128 s[4:7], s[0:1], 0x10
	s_lshl_b32 s2, s15, 8
	s_waitcnt lgkmcnt(0)
	s_add_u32 s2, s2, s6
	s_addc_u32 s3, 0, s7
	s_sub_u32 s4, s4, s2
	s_subb_u32 s5, s5, s3
	s_delay_alu instid0(SALU_CYCLE_1) | instskip(NEXT) | instid1(VALU_DEP_1)
	v_cmp_gt_u64_e64 s5, 0x100, s[4:5]
	s_and_b32 vcc_lo, exec_lo, s5
	s_mov_b32 s5, 0
	s_cbranch_vccz .LBB1_2
; %bb.1:
	v_cmp_gt_u32_e32 vcc_lo, s4, v0
	s_and_b32 s5, vcc_lo, exec_lo
	s_cbranch_execz .LBB1_3
	s_branch .LBB1_4
.LBB1_2:
.LBB1_3:
	s_or_b32 s5, s5, exec_lo
.LBB1_4:
	s_delay_alu instid0(SALU_CYCLE_1)
	s_and_saveexec_b32 s4, s5
	s_cbranch_execnz .LBB1_6
; %bb.5:
	s_endpgm
.LBB1_6:
	s_clause 0x1
	s_load_b64 s[4:5], s[0:1], 0x0
	s_load_b32 s6, s[0:1], 0x8
	v_mov_b32_e32 v1, 0
	s_lshl_b64 s[0:1], s[2:3], 2
	s_waitcnt lgkmcnt(0)
	s_add_u32 s0, s4, s0
	v_mov_b32_e32 v2, s6
	v_lshlrev_b64 v[0:1], 2, v[0:1]
	s_addc_u32 s1, s5, s1
	s_delay_alu instid0(VALU_DEP_1) | instskip(NEXT) | instid1(VALU_DEP_2)
	v_add_co_u32 v0, vcc_lo, s0, v0
	v_add_co_ci_u32_e32 v1, vcc_lo, s1, v1, vcc_lo
	flat_store_b32 v[0:1], v2
	s_endpgm
	.section	.rodata,"a",@progbits
	.p2align	6, 0x0
	.amdhsa_kernel _ZN6thrust23THRUST_200600_302600_NS11hip_rocprim14__parallel_for6kernelILj256ENS1_20__uninitialized_fill7functorINS0_10device_ptrIiEEiEEmLj1EEEvT0_T1_SA_
		.amdhsa_group_segment_fixed_size 0
		.amdhsa_private_segment_fixed_size 0
		.amdhsa_kernarg_size 32
		.amdhsa_user_sgpr_count 15
		.amdhsa_user_sgpr_dispatch_ptr 0
		.amdhsa_user_sgpr_queue_ptr 0
		.amdhsa_user_sgpr_kernarg_segment_ptr 1
		.amdhsa_user_sgpr_dispatch_id 0
		.amdhsa_user_sgpr_private_segment_size 0
		.amdhsa_wavefront_size32 1
		.amdhsa_uses_dynamic_stack 0
		.amdhsa_enable_private_segment 0
		.amdhsa_system_sgpr_workgroup_id_x 1
		.amdhsa_system_sgpr_workgroup_id_y 0
		.amdhsa_system_sgpr_workgroup_id_z 0
		.amdhsa_system_sgpr_workgroup_info 0
		.amdhsa_system_vgpr_workitem_id 0
		.amdhsa_next_free_vgpr 3
		.amdhsa_next_free_sgpr 16
		.amdhsa_reserve_vcc 1
		.amdhsa_float_round_mode_32 0
		.amdhsa_float_round_mode_16_64 0
		.amdhsa_float_denorm_mode_32 3
		.amdhsa_float_denorm_mode_16_64 3
		.amdhsa_dx10_clamp 1
		.amdhsa_ieee_mode 1
		.amdhsa_fp16_overflow 0
		.amdhsa_workgroup_processor_mode 1
		.amdhsa_memory_ordered 1
		.amdhsa_forward_progress 0
		.amdhsa_shared_vgpr_count 0
		.amdhsa_exception_fp_ieee_invalid_op 0
		.amdhsa_exception_fp_denorm_src 0
		.amdhsa_exception_fp_ieee_div_zero 0
		.amdhsa_exception_fp_ieee_overflow 0
		.amdhsa_exception_fp_ieee_underflow 0
		.amdhsa_exception_fp_ieee_inexact 0
		.amdhsa_exception_int_div_zero 0
	.end_amdhsa_kernel
	.section	.text._ZN6thrust23THRUST_200600_302600_NS11hip_rocprim14__parallel_for6kernelILj256ENS1_20__uninitialized_fill7functorINS0_10device_ptrIiEEiEEmLj1EEEvT0_T1_SA_,"axG",@progbits,_ZN6thrust23THRUST_200600_302600_NS11hip_rocprim14__parallel_for6kernelILj256ENS1_20__uninitialized_fill7functorINS0_10device_ptrIiEEiEEmLj1EEEvT0_T1_SA_,comdat
.Lfunc_end1:
	.size	_ZN6thrust23THRUST_200600_302600_NS11hip_rocprim14__parallel_for6kernelILj256ENS1_20__uninitialized_fill7functorINS0_10device_ptrIiEEiEEmLj1EEEvT0_T1_SA_, .Lfunc_end1-_ZN6thrust23THRUST_200600_302600_NS11hip_rocprim14__parallel_for6kernelILj256ENS1_20__uninitialized_fill7functorINS0_10device_ptrIiEEiEEmLj1EEEvT0_T1_SA_
                                        ; -- End function
	.section	.AMDGPU.csdata,"",@progbits
; Kernel info:
; codeLenInByte = 176
; NumSgprs: 18
; NumVgprs: 3
; ScratchSize: 0
; MemoryBound: 0
; FloatMode: 240
; IeeeMode: 1
; LDSByteSize: 0 bytes/workgroup (compile time only)
; SGPRBlocks: 2
; VGPRBlocks: 0
; NumSGPRsForWavesPerEU: 18
; NumVGPRsForWavesPerEU: 3
; Occupancy: 16
; WaveLimiterHint : 0
; COMPUTE_PGM_RSRC2:SCRATCH_EN: 0
; COMPUTE_PGM_RSRC2:USER_SGPR: 15
; COMPUTE_PGM_RSRC2:TRAP_HANDLER: 0
; COMPUTE_PGM_RSRC2:TGID_X_EN: 1
; COMPUTE_PGM_RSRC2:TGID_Y_EN: 0
; COMPUTE_PGM_RSRC2:TGID_Z_EN: 0
; COMPUTE_PGM_RSRC2:TIDIG_COMP_CNT: 0
	.section	.text._ZN7rocprim17ROCPRIM_400000_NS6detail31init_lookback_scan_state_kernelINS1_19lookback_scan_stateIiLb0ELb1EEENS1_16block_id_wrapperIjLb0EEEEEvT_jT0_jPNS7_10value_typeE,"axG",@progbits,_ZN7rocprim17ROCPRIM_400000_NS6detail31init_lookback_scan_state_kernelINS1_19lookback_scan_stateIiLb0ELb1EEENS1_16block_id_wrapperIjLb0EEEEEvT_jT0_jPNS7_10value_typeE,comdat
	.protected	_ZN7rocprim17ROCPRIM_400000_NS6detail31init_lookback_scan_state_kernelINS1_19lookback_scan_stateIiLb0ELb1EEENS1_16block_id_wrapperIjLb0EEEEEvT_jT0_jPNS7_10value_typeE ; -- Begin function _ZN7rocprim17ROCPRIM_400000_NS6detail31init_lookback_scan_state_kernelINS1_19lookback_scan_stateIiLb0ELb1EEENS1_16block_id_wrapperIjLb0EEEEEvT_jT0_jPNS7_10value_typeE
	.globl	_ZN7rocprim17ROCPRIM_400000_NS6detail31init_lookback_scan_state_kernelINS1_19lookback_scan_stateIiLb0ELb1EEENS1_16block_id_wrapperIjLb0EEEEEvT_jT0_jPNS7_10value_typeE
	.p2align	8
	.type	_ZN7rocprim17ROCPRIM_400000_NS6detail31init_lookback_scan_state_kernelINS1_19lookback_scan_stateIiLb0ELb1EEENS1_16block_id_wrapperIjLb0EEEEEvT_jT0_jPNS7_10value_typeE,@function
_ZN7rocprim17ROCPRIM_400000_NS6detail31init_lookback_scan_state_kernelINS1_19lookback_scan_stateIiLb0ELb1EEENS1_16block_id_wrapperIjLb0EEEEEvT_jT0_jPNS7_10value_typeE: ; @_ZN7rocprim17ROCPRIM_400000_NS6detail31init_lookback_scan_state_kernelINS1_19lookback_scan_stateIiLb0ELb1EEENS1_16block_id_wrapperIjLb0EEEEEvT_jT0_jPNS7_10value_typeE
; %bb.0:
	s_clause 0x3
	s_load_b32 s7, s[0:1], 0x2c
	s_load_b64 s[4:5], s[0:1], 0x18
	s_load_b64 s[2:3], s[0:1], 0x0
	s_load_b32 s6, s[0:1], 0x8
	s_waitcnt lgkmcnt(0)
	s_and_b32 s7, s7, 0xffff
	s_cmp_eq_u64 s[4:5], 0
	v_mad_u64_u32 v[1:2], null, s15, s7, v[0:1]
	s_cbranch_scc1 .LBB2_6
; %bb.1:
	s_load_b32 s0, s[0:1], 0x10
	s_waitcnt lgkmcnt(0)
	s_cmp_lt_u32 s0, s6
	s_cselect_b32 s1, s0, 0
	s_delay_alu instid0(VALU_DEP_1) | instid1(SALU_CYCLE_1)
	v_cmp_eq_u32_e32 vcc_lo, s1, v1
	s_mov_b32 s1, 0
	s_and_saveexec_b32 s7, vcc_lo
	s_cbranch_execz .LBB2_5
; %bb.2:
	s_add_i32 s0, s0, 32
	v_mov_b32_e32 v4, 0
	s_lshl_b64 s[0:1], s[0:1], 3
	s_delay_alu instid0(SALU_CYCLE_1) | instskip(SKIP_4) | instid1(VALU_DEP_1)
	s_add_u32 s0, s2, s0
	s_addc_u32 s1, s3, s1
	global_load_b64 v[2:3], v4, s[0:1] glc
	s_waitcnt vmcnt(0)
	v_and_b32_e32 v5, 0xff, v3
	v_cmp_ne_u64_e32 vcc_lo, 0, v[4:5]
	s_cbranch_vccnz .LBB2_4
.LBB2_3:                                ; =>This Inner Loop Header: Depth=1
	global_load_b64 v[2:3], v4, s[0:1] glc
	s_waitcnt vmcnt(0)
	v_and_b32_e32 v5, 0xff, v3
	s_delay_alu instid0(VALU_DEP_1)
	v_cmp_eq_u64_e32 vcc_lo, 0, v[4:5]
	s_cbranch_vccnz .LBB2_3
.LBB2_4:
	v_mov_b32_e32 v0, 0
	global_store_b32 v0, v2, s[4:5]
.LBB2_5:
	s_or_b32 exec_lo, exec_lo, s7
.LBB2_6:
	s_delay_alu instid0(SALU_CYCLE_1) | instskip(NEXT) | instid1(VALU_DEP_1)
	s_mov_b32 s0, exec_lo
	v_cmpx_gt_u32_e64 s6, v1
	s_cbranch_execz .LBB2_8
; %bb.7:
	v_dual_mov_b32 v3, 0 :: v_dual_add_nc_u32 v2, 32, v1
	s_delay_alu instid0(VALU_DEP_1) | instskip(SKIP_1) | instid1(VALU_DEP_2)
	v_lshlrev_b64 v[4:5], 3, v[2:3]
	v_mov_b32_e32 v2, v3
	v_add_co_u32 v4, vcc_lo, s2, v4
	s_delay_alu instid0(VALU_DEP_3)
	v_add_co_ci_u32_e32 v5, vcc_lo, s3, v5, vcc_lo
	global_store_b64 v[4:5], v[2:3], off
.LBB2_8:
	s_or_b32 exec_lo, exec_lo, s0
	s_delay_alu instid0(SALU_CYCLE_1)
	s_mov_b32 s0, exec_lo
	v_cmpx_gt_u32_e32 32, v1
	s_cbranch_execz .LBB2_10
; %bb.9:
	v_dual_mov_b32 v2, 0 :: v_dual_mov_b32 v3, 0xff
	s_delay_alu instid0(VALU_DEP_1) | instskip(NEXT) | instid1(VALU_DEP_1)
	v_lshlrev_b64 v[0:1], 3, v[1:2]
	v_add_co_u32 v0, vcc_lo, s2, v0
	s_delay_alu instid0(VALU_DEP_2)
	v_add_co_ci_u32_e32 v1, vcc_lo, s3, v1, vcc_lo
	global_store_b64 v[0:1], v[2:3], off
.LBB2_10:
	s_nop 0
	s_sendmsg sendmsg(MSG_DEALLOC_VGPRS)
	s_endpgm
	.section	.rodata,"a",@progbits
	.p2align	6, 0x0
	.amdhsa_kernel _ZN7rocprim17ROCPRIM_400000_NS6detail31init_lookback_scan_state_kernelINS1_19lookback_scan_stateIiLb0ELb1EEENS1_16block_id_wrapperIjLb0EEEEEvT_jT0_jPNS7_10value_typeE
		.amdhsa_group_segment_fixed_size 0
		.amdhsa_private_segment_fixed_size 0
		.amdhsa_kernarg_size 288
		.amdhsa_user_sgpr_count 15
		.amdhsa_user_sgpr_dispatch_ptr 0
		.amdhsa_user_sgpr_queue_ptr 0
		.amdhsa_user_sgpr_kernarg_segment_ptr 1
		.amdhsa_user_sgpr_dispatch_id 0
		.amdhsa_user_sgpr_private_segment_size 0
		.amdhsa_wavefront_size32 1
		.amdhsa_uses_dynamic_stack 0
		.amdhsa_enable_private_segment 0
		.amdhsa_system_sgpr_workgroup_id_x 1
		.amdhsa_system_sgpr_workgroup_id_y 0
		.amdhsa_system_sgpr_workgroup_id_z 0
		.amdhsa_system_sgpr_workgroup_info 0
		.amdhsa_system_vgpr_workitem_id 0
		.amdhsa_next_free_vgpr 6
		.amdhsa_next_free_sgpr 16
		.amdhsa_reserve_vcc 1
		.amdhsa_float_round_mode_32 0
		.amdhsa_float_round_mode_16_64 0
		.amdhsa_float_denorm_mode_32 3
		.amdhsa_float_denorm_mode_16_64 3
		.amdhsa_dx10_clamp 1
		.amdhsa_ieee_mode 1
		.amdhsa_fp16_overflow 0
		.amdhsa_workgroup_processor_mode 1
		.amdhsa_memory_ordered 1
		.amdhsa_forward_progress 0
		.amdhsa_shared_vgpr_count 0
		.amdhsa_exception_fp_ieee_invalid_op 0
		.amdhsa_exception_fp_denorm_src 0
		.amdhsa_exception_fp_ieee_div_zero 0
		.amdhsa_exception_fp_ieee_overflow 0
		.amdhsa_exception_fp_ieee_underflow 0
		.amdhsa_exception_fp_ieee_inexact 0
		.amdhsa_exception_int_div_zero 0
	.end_amdhsa_kernel
	.section	.text._ZN7rocprim17ROCPRIM_400000_NS6detail31init_lookback_scan_state_kernelINS1_19lookback_scan_stateIiLb0ELb1EEENS1_16block_id_wrapperIjLb0EEEEEvT_jT0_jPNS7_10value_typeE,"axG",@progbits,_ZN7rocprim17ROCPRIM_400000_NS6detail31init_lookback_scan_state_kernelINS1_19lookback_scan_stateIiLb0ELb1EEENS1_16block_id_wrapperIjLb0EEEEEvT_jT0_jPNS7_10value_typeE,comdat
.Lfunc_end2:
	.size	_ZN7rocprim17ROCPRIM_400000_NS6detail31init_lookback_scan_state_kernelINS1_19lookback_scan_stateIiLb0ELb1EEENS1_16block_id_wrapperIjLb0EEEEEvT_jT0_jPNS7_10value_typeE, .Lfunc_end2-_ZN7rocprim17ROCPRIM_400000_NS6detail31init_lookback_scan_state_kernelINS1_19lookback_scan_stateIiLb0ELb1EEENS1_16block_id_wrapperIjLb0EEEEEvT_jT0_jPNS7_10value_typeE
                                        ; -- End function
	.section	.AMDGPU.csdata,"",@progbits
; Kernel info:
; codeLenInByte = 352
; NumSgprs: 18
; NumVgprs: 6
; ScratchSize: 0
; MemoryBound: 0
; FloatMode: 240
; IeeeMode: 1
; LDSByteSize: 0 bytes/workgroup (compile time only)
; SGPRBlocks: 2
; VGPRBlocks: 0
; NumSGPRsForWavesPerEU: 18
; NumVGPRsForWavesPerEU: 6
; Occupancy: 16
; WaveLimiterHint : 0
; COMPUTE_PGM_RSRC2:SCRATCH_EN: 0
; COMPUTE_PGM_RSRC2:USER_SGPR: 15
; COMPUTE_PGM_RSRC2:TRAP_HANDLER: 0
; COMPUTE_PGM_RSRC2:TGID_X_EN: 1
; COMPUTE_PGM_RSRC2:TGID_Y_EN: 0
; COMPUTE_PGM_RSRC2:TGID_Z_EN: 0
; COMPUTE_PGM_RSRC2:TIDIG_COMP_CNT: 0
	.section	.text._ZN7rocprim17ROCPRIM_400000_NS6detail17trampoline_kernelINS0_14default_configENS1_20scan_config_selectorIiEEZZNS1_9scan_implILNS1_25lookback_scan_determinismE0ELb0ELb0ES3_N6thrust23THRUST_200600_302600_NS6detail15normal_iteratorINS9_10device_ptrIiEEEESE_iNS9_4plusIvEEiEEDaPvRmT3_T4_T5_mT6_P12ihipStream_tbENKUlT_T0_E_clISt17integral_constantIbLb0EESU_EEDaSP_SQ_EUlSP_E_NS1_11comp_targetILNS1_3genE0ELNS1_11target_archE4294967295ELNS1_3gpuE0ELNS1_3repE0EEENS1_30default_config_static_selectorELNS0_4arch9wavefront6targetE0EEEvT1_,"axG",@progbits,_ZN7rocprim17ROCPRIM_400000_NS6detail17trampoline_kernelINS0_14default_configENS1_20scan_config_selectorIiEEZZNS1_9scan_implILNS1_25lookback_scan_determinismE0ELb0ELb0ES3_N6thrust23THRUST_200600_302600_NS6detail15normal_iteratorINS9_10device_ptrIiEEEESE_iNS9_4plusIvEEiEEDaPvRmT3_T4_T5_mT6_P12ihipStream_tbENKUlT_T0_E_clISt17integral_constantIbLb0EESU_EEDaSP_SQ_EUlSP_E_NS1_11comp_targetILNS1_3genE0ELNS1_11target_archE4294967295ELNS1_3gpuE0ELNS1_3repE0EEENS1_30default_config_static_selectorELNS0_4arch9wavefront6targetE0EEEvT1_,comdat
	.protected	_ZN7rocprim17ROCPRIM_400000_NS6detail17trampoline_kernelINS0_14default_configENS1_20scan_config_selectorIiEEZZNS1_9scan_implILNS1_25lookback_scan_determinismE0ELb0ELb0ES3_N6thrust23THRUST_200600_302600_NS6detail15normal_iteratorINS9_10device_ptrIiEEEESE_iNS9_4plusIvEEiEEDaPvRmT3_T4_T5_mT6_P12ihipStream_tbENKUlT_T0_E_clISt17integral_constantIbLb0EESU_EEDaSP_SQ_EUlSP_E_NS1_11comp_targetILNS1_3genE0ELNS1_11target_archE4294967295ELNS1_3gpuE0ELNS1_3repE0EEENS1_30default_config_static_selectorELNS0_4arch9wavefront6targetE0EEEvT1_ ; -- Begin function _ZN7rocprim17ROCPRIM_400000_NS6detail17trampoline_kernelINS0_14default_configENS1_20scan_config_selectorIiEEZZNS1_9scan_implILNS1_25lookback_scan_determinismE0ELb0ELb0ES3_N6thrust23THRUST_200600_302600_NS6detail15normal_iteratorINS9_10device_ptrIiEEEESE_iNS9_4plusIvEEiEEDaPvRmT3_T4_T5_mT6_P12ihipStream_tbENKUlT_T0_E_clISt17integral_constantIbLb0EESU_EEDaSP_SQ_EUlSP_E_NS1_11comp_targetILNS1_3genE0ELNS1_11target_archE4294967295ELNS1_3gpuE0ELNS1_3repE0EEENS1_30default_config_static_selectorELNS0_4arch9wavefront6targetE0EEEvT1_
	.globl	_ZN7rocprim17ROCPRIM_400000_NS6detail17trampoline_kernelINS0_14default_configENS1_20scan_config_selectorIiEEZZNS1_9scan_implILNS1_25lookback_scan_determinismE0ELb0ELb0ES3_N6thrust23THRUST_200600_302600_NS6detail15normal_iteratorINS9_10device_ptrIiEEEESE_iNS9_4plusIvEEiEEDaPvRmT3_T4_T5_mT6_P12ihipStream_tbENKUlT_T0_E_clISt17integral_constantIbLb0EESU_EEDaSP_SQ_EUlSP_E_NS1_11comp_targetILNS1_3genE0ELNS1_11target_archE4294967295ELNS1_3gpuE0ELNS1_3repE0EEENS1_30default_config_static_selectorELNS0_4arch9wavefront6targetE0EEEvT1_
	.p2align	8
	.type	_ZN7rocprim17ROCPRIM_400000_NS6detail17trampoline_kernelINS0_14default_configENS1_20scan_config_selectorIiEEZZNS1_9scan_implILNS1_25lookback_scan_determinismE0ELb0ELb0ES3_N6thrust23THRUST_200600_302600_NS6detail15normal_iteratorINS9_10device_ptrIiEEEESE_iNS9_4plusIvEEiEEDaPvRmT3_T4_T5_mT6_P12ihipStream_tbENKUlT_T0_E_clISt17integral_constantIbLb0EESU_EEDaSP_SQ_EUlSP_E_NS1_11comp_targetILNS1_3genE0ELNS1_11target_archE4294967295ELNS1_3gpuE0ELNS1_3repE0EEENS1_30default_config_static_selectorELNS0_4arch9wavefront6targetE0EEEvT1_,@function
_ZN7rocprim17ROCPRIM_400000_NS6detail17trampoline_kernelINS0_14default_configENS1_20scan_config_selectorIiEEZZNS1_9scan_implILNS1_25lookback_scan_determinismE0ELb0ELb0ES3_N6thrust23THRUST_200600_302600_NS6detail15normal_iteratorINS9_10device_ptrIiEEEESE_iNS9_4plusIvEEiEEDaPvRmT3_T4_T5_mT6_P12ihipStream_tbENKUlT_T0_E_clISt17integral_constantIbLb0EESU_EEDaSP_SQ_EUlSP_E_NS1_11comp_targetILNS1_3genE0ELNS1_11target_archE4294967295ELNS1_3gpuE0ELNS1_3repE0EEENS1_30default_config_static_selectorELNS0_4arch9wavefront6targetE0EEEvT1_: ; @_ZN7rocprim17ROCPRIM_400000_NS6detail17trampoline_kernelINS0_14default_configENS1_20scan_config_selectorIiEEZZNS1_9scan_implILNS1_25lookback_scan_determinismE0ELb0ELb0ES3_N6thrust23THRUST_200600_302600_NS6detail15normal_iteratorINS9_10device_ptrIiEEEESE_iNS9_4plusIvEEiEEDaPvRmT3_T4_T5_mT6_P12ihipStream_tbENKUlT_T0_E_clISt17integral_constantIbLb0EESU_EEDaSP_SQ_EUlSP_E_NS1_11comp_targetILNS1_3genE0ELNS1_11target_archE4294967295ELNS1_3gpuE0ELNS1_3repE0EEENS1_30default_config_static_selectorELNS0_4arch9wavefront6targetE0EEEvT1_
; %bb.0:
	.section	.rodata,"a",@progbits
	.p2align	6, 0x0
	.amdhsa_kernel _ZN7rocprim17ROCPRIM_400000_NS6detail17trampoline_kernelINS0_14default_configENS1_20scan_config_selectorIiEEZZNS1_9scan_implILNS1_25lookback_scan_determinismE0ELb0ELb0ES3_N6thrust23THRUST_200600_302600_NS6detail15normal_iteratorINS9_10device_ptrIiEEEESE_iNS9_4plusIvEEiEEDaPvRmT3_T4_T5_mT6_P12ihipStream_tbENKUlT_T0_E_clISt17integral_constantIbLb0EESU_EEDaSP_SQ_EUlSP_E_NS1_11comp_targetILNS1_3genE0ELNS1_11target_archE4294967295ELNS1_3gpuE0ELNS1_3repE0EEENS1_30default_config_static_selectorELNS0_4arch9wavefront6targetE0EEEvT1_
		.amdhsa_group_segment_fixed_size 0
		.amdhsa_private_segment_fixed_size 0
		.amdhsa_kernarg_size 96
		.amdhsa_user_sgpr_count 15
		.amdhsa_user_sgpr_dispatch_ptr 0
		.amdhsa_user_sgpr_queue_ptr 0
		.amdhsa_user_sgpr_kernarg_segment_ptr 1
		.amdhsa_user_sgpr_dispatch_id 0
		.amdhsa_user_sgpr_private_segment_size 0
		.amdhsa_wavefront_size32 1
		.amdhsa_uses_dynamic_stack 0
		.amdhsa_enable_private_segment 0
		.amdhsa_system_sgpr_workgroup_id_x 1
		.amdhsa_system_sgpr_workgroup_id_y 0
		.amdhsa_system_sgpr_workgroup_id_z 0
		.amdhsa_system_sgpr_workgroup_info 0
		.amdhsa_system_vgpr_workitem_id 0
		.amdhsa_next_free_vgpr 1
		.amdhsa_next_free_sgpr 1
		.amdhsa_reserve_vcc 0
		.amdhsa_float_round_mode_32 0
		.amdhsa_float_round_mode_16_64 0
		.amdhsa_float_denorm_mode_32 3
		.amdhsa_float_denorm_mode_16_64 3
		.amdhsa_dx10_clamp 1
		.amdhsa_ieee_mode 1
		.amdhsa_fp16_overflow 0
		.amdhsa_workgroup_processor_mode 1
		.amdhsa_memory_ordered 1
		.amdhsa_forward_progress 0
		.amdhsa_shared_vgpr_count 0
		.amdhsa_exception_fp_ieee_invalid_op 0
		.amdhsa_exception_fp_denorm_src 0
		.amdhsa_exception_fp_ieee_div_zero 0
		.amdhsa_exception_fp_ieee_overflow 0
		.amdhsa_exception_fp_ieee_underflow 0
		.amdhsa_exception_fp_ieee_inexact 0
		.amdhsa_exception_int_div_zero 0
	.end_amdhsa_kernel
	.section	.text._ZN7rocprim17ROCPRIM_400000_NS6detail17trampoline_kernelINS0_14default_configENS1_20scan_config_selectorIiEEZZNS1_9scan_implILNS1_25lookback_scan_determinismE0ELb0ELb0ES3_N6thrust23THRUST_200600_302600_NS6detail15normal_iteratorINS9_10device_ptrIiEEEESE_iNS9_4plusIvEEiEEDaPvRmT3_T4_T5_mT6_P12ihipStream_tbENKUlT_T0_E_clISt17integral_constantIbLb0EESU_EEDaSP_SQ_EUlSP_E_NS1_11comp_targetILNS1_3genE0ELNS1_11target_archE4294967295ELNS1_3gpuE0ELNS1_3repE0EEENS1_30default_config_static_selectorELNS0_4arch9wavefront6targetE0EEEvT1_,"axG",@progbits,_ZN7rocprim17ROCPRIM_400000_NS6detail17trampoline_kernelINS0_14default_configENS1_20scan_config_selectorIiEEZZNS1_9scan_implILNS1_25lookback_scan_determinismE0ELb0ELb0ES3_N6thrust23THRUST_200600_302600_NS6detail15normal_iteratorINS9_10device_ptrIiEEEESE_iNS9_4plusIvEEiEEDaPvRmT3_T4_T5_mT6_P12ihipStream_tbENKUlT_T0_E_clISt17integral_constantIbLb0EESU_EEDaSP_SQ_EUlSP_E_NS1_11comp_targetILNS1_3genE0ELNS1_11target_archE4294967295ELNS1_3gpuE0ELNS1_3repE0EEENS1_30default_config_static_selectorELNS0_4arch9wavefront6targetE0EEEvT1_,comdat
.Lfunc_end3:
	.size	_ZN7rocprim17ROCPRIM_400000_NS6detail17trampoline_kernelINS0_14default_configENS1_20scan_config_selectorIiEEZZNS1_9scan_implILNS1_25lookback_scan_determinismE0ELb0ELb0ES3_N6thrust23THRUST_200600_302600_NS6detail15normal_iteratorINS9_10device_ptrIiEEEESE_iNS9_4plusIvEEiEEDaPvRmT3_T4_T5_mT6_P12ihipStream_tbENKUlT_T0_E_clISt17integral_constantIbLb0EESU_EEDaSP_SQ_EUlSP_E_NS1_11comp_targetILNS1_3genE0ELNS1_11target_archE4294967295ELNS1_3gpuE0ELNS1_3repE0EEENS1_30default_config_static_selectorELNS0_4arch9wavefront6targetE0EEEvT1_, .Lfunc_end3-_ZN7rocprim17ROCPRIM_400000_NS6detail17trampoline_kernelINS0_14default_configENS1_20scan_config_selectorIiEEZZNS1_9scan_implILNS1_25lookback_scan_determinismE0ELb0ELb0ES3_N6thrust23THRUST_200600_302600_NS6detail15normal_iteratorINS9_10device_ptrIiEEEESE_iNS9_4plusIvEEiEEDaPvRmT3_T4_T5_mT6_P12ihipStream_tbENKUlT_T0_E_clISt17integral_constantIbLb0EESU_EEDaSP_SQ_EUlSP_E_NS1_11comp_targetILNS1_3genE0ELNS1_11target_archE4294967295ELNS1_3gpuE0ELNS1_3repE0EEENS1_30default_config_static_selectorELNS0_4arch9wavefront6targetE0EEEvT1_
                                        ; -- End function
	.section	.AMDGPU.csdata,"",@progbits
; Kernel info:
; codeLenInByte = 0
; NumSgprs: 0
; NumVgprs: 0
; ScratchSize: 0
; MemoryBound: 0
; FloatMode: 240
; IeeeMode: 1
; LDSByteSize: 0 bytes/workgroup (compile time only)
; SGPRBlocks: 0
; VGPRBlocks: 0
; NumSGPRsForWavesPerEU: 1
; NumVGPRsForWavesPerEU: 1
; Occupancy: 16
; WaveLimiterHint : 0
; COMPUTE_PGM_RSRC2:SCRATCH_EN: 0
; COMPUTE_PGM_RSRC2:USER_SGPR: 15
; COMPUTE_PGM_RSRC2:TRAP_HANDLER: 0
; COMPUTE_PGM_RSRC2:TGID_X_EN: 1
; COMPUTE_PGM_RSRC2:TGID_Y_EN: 0
; COMPUTE_PGM_RSRC2:TGID_Z_EN: 0
; COMPUTE_PGM_RSRC2:TIDIG_COMP_CNT: 0
	.section	.text._ZN7rocprim17ROCPRIM_400000_NS6detail17trampoline_kernelINS0_14default_configENS1_20scan_config_selectorIiEEZZNS1_9scan_implILNS1_25lookback_scan_determinismE0ELb0ELb0ES3_N6thrust23THRUST_200600_302600_NS6detail15normal_iteratorINS9_10device_ptrIiEEEESE_iNS9_4plusIvEEiEEDaPvRmT3_T4_T5_mT6_P12ihipStream_tbENKUlT_T0_E_clISt17integral_constantIbLb0EESU_EEDaSP_SQ_EUlSP_E_NS1_11comp_targetILNS1_3genE5ELNS1_11target_archE942ELNS1_3gpuE9ELNS1_3repE0EEENS1_30default_config_static_selectorELNS0_4arch9wavefront6targetE0EEEvT1_,"axG",@progbits,_ZN7rocprim17ROCPRIM_400000_NS6detail17trampoline_kernelINS0_14default_configENS1_20scan_config_selectorIiEEZZNS1_9scan_implILNS1_25lookback_scan_determinismE0ELb0ELb0ES3_N6thrust23THRUST_200600_302600_NS6detail15normal_iteratorINS9_10device_ptrIiEEEESE_iNS9_4plusIvEEiEEDaPvRmT3_T4_T5_mT6_P12ihipStream_tbENKUlT_T0_E_clISt17integral_constantIbLb0EESU_EEDaSP_SQ_EUlSP_E_NS1_11comp_targetILNS1_3genE5ELNS1_11target_archE942ELNS1_3gpuE9ELNS1_3repE0EEENS1_30default_config_static_selectorELNS0_4arch9wavefront6targetE0EEEvT1_,comdat
	.protected	_ZN7rocprim17ROCPRIM_400000_NS6detail17trampoline_kernelINS0_14default_configENS1_20scan_config_selectorIiEEZZNS1_9scan_implILNS1_25lookback_scan_determinismE0ELb0ELb0ES3_N6thrust23THRUST_200600_302600_NS6detail15normal_iteratorINS9_10device_ptrIiEEEESE_iNS9_4plusIvEEiEEDaPvRmT3_T4_T5_mT6_P12ihipStream_tbENKUlT_T0_E_clISt17integral_constantIbLb0EESU_EEDaSP_SQ_EUlSP_E_NS1_11comp_targetILNS1_3genE5ELNS1_11target_archE942ELNS1_3gpuE9ELNS1_3repE0EEENS1_30default_config_static_selectorELNS0_4arch9wavefront6targetE0EEEvT1_ ; -- Begin function _ZN7rocprim17ROCPRIM_400000_NS6detail17trampoline_kernelINS0_14default_configENS1_20scan_config_selectorIiEEZZNS1_9scan_implILNS1_25lookback_scan_determinismE0ELb0ELb0ES3_N6thrust23THRUST_200600_302600_NS6detail15normal_iteratorINS9_10device_ptrIiEEEESE_iNS9_4plusIvEEiEEDaPvRmT3_T4_T5_mT6_P12ihipStream_tbENKUlT_T0_E_clISt17integral_constantIbLb0EESU_EEDaSP_SQ_EUlSP_E_NS1_11comp_targetILNS1_3genE5ELNS1_11target_archE942ELNS1_3gpuE9ELNS1_3repE0EEENS1_30default_config_static_selectorELNS0_4arch9wavefront6targetE0EEEvT1_
	.globl	_ZN7rocprim17ROCPRIM_400000_NS6detail17trampoline_kernelINS0_14default_configENS1_20scan_config_selectorIiEEZZNS1_9scan_implILNS1_25lookback_scan_determinismE0ELb0ELb0ES3_N6thrust23THRUST_200600_302600_NS6detail15normal_iteratorINS9_10device_ptrIiEEEESE_iNS9_4plusIvEEiEEDaPvRmT3_T4_T5_mT6_P12ihipStream_tbENKUlT_T0_E_clISt17integral_constantIbLb0EESU_EEDaSP_SQ_EUlSP_E_NS1_11comp_targetILNS1_3genE5ELNS1_11target_archE942ELNS1_3gpuE9ELNS1_3repE0EEENS1_30default_config_static_selectorELNS0_4arch9wavefront6targetE0EEEvT1_
	.p2align	8
	.type	_ZN7rocprim17ROCPRIM_400000_NS6detail17trampoline_kernelINS0_14default_configENS1_20scan_config_selectorIiEEZZNS1_9scan_implILNS1_25lookback_scan_determinismE0ELb0ELb0ES3_N6thrust23THRUST_200600_302600_NS6detail15normal_iteratorINS9_10device_ptrIiEEEESE_iNS9_4plusIvEEiEEDaPvRmT3_T4_T5_mT6_P12ihipStream_tbENKUlT_T0_E_clISt17integral_constantIbLb0EESU_EEDaSP_SQ_EUlSP_E_NS1_11comp_targetILNS1_3genE5ELNS1_11target_archE942ELNS1_3gpuE9ELNS1_3repE0EEENS1_30default_config_static_selectorELNS0_4arch9wavefront6targetE0EEEvT1_,@function
_ZN7rocprim17ROCPRIM_400000_NS6detail17trampoline_kernelINS0_14default_configENS1_20scan_config_selectorIiEEZZNS1_9scan_implILNS1_25lookback_scan_determinismE0ELb0ELb0ES3_N6thrust23THRUST_200600_302600_NS6detail15normal_iteratorINS9_10device_ptrIiEEEESE_iNS9_4plusIvEEiEEDaPvRmT3_T4_T5_mT6_P12ihipStream_tbENKUlT_T0_E_clISt17integral_constantIbLb0EESU_EEDaSP_SQ_EUlSP_E_NS1_11comp_targetILNS1_3genE5ELNS1_11target_archE942ELNS1_3gpuE9ELNS1_3repE0EEENS1_30default_config_static_selectorELNS0_4arch9wavefront6targetE0EEEvT1_: ; @_ZN7rocprim17ROCPRIM_400000_NS6detail17trampoline_kernelINS0_14default_configENS1_20scan_config_selectorIiEEZZNS1_9scan_implILNS1_25lookback_scan_determinismE0ELb0ELb0ES3_N6thrust23THRUST_200600_302600_NS6detail15normal_iteratorINS9_10device_ptrIiEEEESE_iNS9_4plusIvEEiEEDaPvRmT3_T4_T5_mT6_P12ihipStream_tbENKUlT_T0_E_clISt17integral_constantIbLb0EESU_EEDaSP_SQ_EUlSP_E_NS1_11comp_targetILNS1_3genE5ELNS1_11target_archE942ELNS1_3gpuE9ELNS1_3repE0EEENS1_30default_config_static_selectorELNS0_4arch9wavefront6targetE0EEEvT1_
; %bb.0:
	.section	.rodata,"a",@progbits
	.p2align	6, 0x0
	.amdhsa_kernel _ZN7rocprim17ROCPRIM_400000_NS6detail17trampoline_kernelINS0_14default_configENS1_20scan_config_selectorIiEEZZNS1_9scan_implILNS1_25lookback_scan_determinismE0ELb0ELb0ES3_N6thrust23THRUST_200600_302600_NS6detail15normal_iteratorINS9_10device_ptrIiEEEESE_iNS9_4plusIvEEiEEDaPvRmT3_T4_T5_mT6_P12ihipStream_tbENKUlT_T0_E_clISt17integral_constantIbLb0EESU_EEDaSP_SQ_EUlSP_E_NS1_11comp_targetILNS1_3genE5ELNS1_11target_archE942ELNS1_3gpuE9ELNS1_3repE0EEENS1_30default_config_static_selectorELNS0_4arch9wavefront6targetE0EEEvT1_
		.amdhsa_group_segment_fixed_size 0
		.amdhsa_private_segment_fixed_size 0
		.amdhsa_kernarg_size 96
		.amdhsa_user_sgpr_count 15
		.amdhsa_user_sgpr_dispatch_ptr 0
		.amdhsa_user_sgpr_queue_ptr 0
		.amdhsa_user_sgpr_kernarg_segment_ptr 1
		.amdhsa_user_sgpr_dispatch_id 0
		.amdhsa_user_sgpr_private_segment_size 0
		.amdhsa_wavefront_size32 1
		.amdhsa_uses_dynamic_stack 0
		.amdhsa_enable_private_segment 0
		.amdhsa_system_sgpr_workgroup_id_x 1
		.amdhsa_system_sgpr_workgroup_id_y 0
		.amdhsa_system_sgpr_workgroup_id_z 0
		.amdhsa_system_sgpr_workgroup_info 0
		.amdhsa_system_vgpr_workitem_id 0
		.amdhsa_next_free_vgpr 1
		.amdhsa_next_free_sgpr 1
		.amdhsa_reserve_vcc 0
		.amdhsa_float_round_mode_32 0
		.amdhsa_float_round_mode_16_64 0
		.amdhsa_float_denorm_mode_32 3
		.amdhsa_float_denorm_mode_16_64 3
		.amdhsa_dx10_clamp 1
		.amdhsa_ieee_mode 1
		.amdhsa_fp16_overflow 0
		.amdhsa_workgroup_processor_mode 1
		.amdhsa_memory_ordered 1
		.amdhsa_forward_progress 0
		.amdhsa_shared_vgpr_count 0
		.amdhsa_exception_fp_ieee_invalid_op 0
		.amdhsa_exception_fp_denorm_src 0
		.amdhsa_exception_fp_ieee_div_zero 0
		.amdhsa_exception_fp_ieee_overflow 0
		.amdhsa_exception_fp_ieee_underflow 0
		.amdhsa_exception_fp_ieee_inexact 0
		.amdhsa_exception_int_div_zero 0
	.end_amdhsa_kernel
	.section	.text._ZN7rocprim17ROCPRIM_400000_NS6detail17trampoline_kernelINS0_14default_configENS1_20scan_config_selectorIiEEZZNS1_9scan_implILNS1_25lookback_scan_determinismE0ELb0ELb0ES3_N6thrust23THRUST_200600_302600_NS6detail15normal_iteratorINS9_10device_ptrIiEEEESE_iNS9_4plusIvEEiEEDaPvRmT3_T4_T5_mT6_P12ihipStream_tbENKUlT_T0_E_clISt17integral_constantIbLb0EESU_EEDaSP_SQ_EUlSP_E_NS1_11comp_targetILNS1_3genE5ELNS1_11target_archE942ELNS1_3gpuE9ELNS1_3repE0EEENS1_30default_config_static_selectorELNS0_4arch9wavefront6targetE0EEEvT1_,"axG",@progbits,_ZN7rocprim17ROCPRIM_400000_NS6detail17trampoline_kernelINS0_14default_configENS1_20scan_config_selectorIiEEZZNS1_9scan_implILNS1_25lookback_scan_determinismE0ELb0ELb0ES3_N6thrust23THRUST_200600_302600_NS6detail15normal_iteratorINS9_10device_ptrIiEEEESE_iNS9_4plusIvEEiEEDaPvRmT3_T4_T5_mT6_P12ihipStream_tbENKUlT_T0_E_clISt17integral_constantIbLb0EESU_EEDaSP_SQ_EUlSP_E_NS1_11comp_targetILNS1_3genE5ELNS1_11target_archE942ELNS1_3gpuE9ELNS1_3repE0EEENS1_30default_config_static_selectorELNS0_4arch9wavefront6targetE0EEEvT1_,comdat
.Lfunc_end4:
	.size	_ZN7rocprim17ROCPRIM_400000_NS6detail17trampoline_kernelINS0_14default_configENS1_20scan_config_selectorIiEEZZNS1_9scan_implILNS1_25lookback_scan_determinismE0ELb0ELb0ES3_N6thrust23THRUST_200600_302600_NS6detail15normal_iteratorINS9_10device_ptrIiEEEESE_iNS9_4plusIvEEiEEDaPvRmT3_T4_T5_mT6_P12ihipStream_tbENKUlT_T0_E_clISt17integral_constantIbLb0EESU_EEDaSP_SQ_EUlSP_E_NS1_11comp_targetILNS1_3genE5ELNS1_11target_archE942ELNS1_3gpuE9ELNS1_3repE0EEENS1_30default_config_static_selectorELNS0_4arch9wavefront6targetE0EEEvT1_, .Lfunc_end4-_ZN7rocprim17ROCPRIM_400000_NS6detail17trampoline_kernelINS0_14default_configENS1_20scan_config_selectorIiEEZZNS1_9scan_implILNS1_25lookback_scan_determinismE0ELb0ELb0ES3_N6thrust23THRUST_200600_302600_NS6detail15normal_iteratorINS9_10device_ptrIiEEEESE_iNS9_4plusIvEEiEEDaPvRmT3_T4_T5_mT6_P12ihipStream_tbENKUlT_T0_E_clISt17integral_constantIbLb0EESU_EEDaSP_SQ_EUlSP_E_NS1_11comp_targetILNS1_3genE5ELNS1_11target_archE942ELNS1_3gpuE9ELNS1_3repE0EEENS1_30default_config_static_selectorELNS0_4arch9wavefront6targetE0EEEvT1_
                                        ; -- End function
	.section	.AMDGPU.csdata,"",@progbits
; Kernel info:
; codeLenInByte = 0
; NumSgprs: 0
; NumVgprs: 0
; ScratchSize: 0
; MemoryBound: 0
; FloatMode: 240
; IeeeMode: 1
; LDSByteSize: 0 bytes/workgroup (compile time only)
; SGPRBlocks: 0
; VGPRBlocks: 0
; NumSGPRsForWavesPerEU: 1
; NumVGPRsForWavesPerEU: 1
; Occupancy: 16
; WaveLimiterHint : 0
; COMPUTE_PGM_RSRC2:SCRATCH_EN: 0
; COMPUTE_PGM_RSRC2:USER_SGPR: 15
; COMPUTE_PGM_RSRC2:TRAP_HANDLER: 0
; COMPUTE_PGM_RSRC2:TGID_X_EN: 1
; COMPUTE_PGM_RSRC2:TGID_Y_EN: 0
; COMPUTE_PGM_RSRC2:TGID_Z_EN: 0
; COMPUTE_PGM_RSRC2:TIDIG_COMP_CNT: 0
	.section	.text._ZN7rocprim17ROCPRIM_400000_NS6detail17trampoline_kernelINS0_14default_configENS1_20scan_config_selectorIiEEZZNS1_9scan_implILNS1_25lookback_scan_determinismE0ELb0ELb0ES3_N6thrust23THRUST_200600_302600_NS6detail15normal_iteratorINS9_10device_ptrIiEEEESE_iNS9_4plusIvEEiEEDaPvRmT3_T4_T5_mT6_P12ihipStream_tbENKUlT_T0_E_clISt17integral_constantIbLb0EESU_EEDaSP_SQ_EUlSP_E_NS1_11comp_targetILNS1_3genE4ELNS1_11target_archE910ELNS1_3gpuE8ELNS1_3repE0EEENS1_30default_config_static_selectorELNS0_4arch9wavefront6targetE0EEEvT1_,"axG",@progbits,_ZN7rocprim17ROCPRIM_400000_NS6detail17trampoline_kernelINS0_14default_configENS1_20scan_config_selectorIiEEZZNS1_9scan_implILNS1_25lookback_scan_determinismE0ELb0ELb0ES3_N6thrust23THRUST_200600_302600_NS6detail15normal_iteratorINS9_10device_ptrIiEEEESE_iNS9_4plusIvEEiEEDaPvRmT3_T4_T5_mT6_P12ihipStream_tbENKUlT_T0_E_clISt17integral_constantIbLb0EESU_EEDaSP_SQ_EUlSP_E_NS1_11comp_targetILNS1_3genE4ELNS1_11target_archE910ELNS1_3gpuE8ELNS1_3repE0EEENS1_30default_config_static_selectorELNS0_4arch9wavefront6targetE0EEEvT1_,comdat
	.protected	_ZN7rocprim17ROCPRIM_400000_NS6detail17trampoline_kernelINS0_14default_configENS1_20scan_config_selectorIiEEZZNS1_9scan_implILNS1_25lookback_scan_determinismE0ELb0ELb0ES3_N6thrust23THRUST_200600_302600_NS6detail15normal_iteratorINS9_10device_ptrIiEEEESE_iNS9_4plusIvEEiEEDaPvRmT3_T4_T5_mT6_P12ihipStream_tbENKUlT_T0_E_clISt17integral_constantIbLb0EESU_EEDaSP_SQ_EUlSP_E_NS1_11comp_targetILNS1_3genE4ELNS1_11target_archE910ELNS1_3gpuE8ELNS1_3repE0EEENS1_30default_config_static_selectorELNS0_4arch9wavefront6targetE0EEEvT1_ ; -- Begin function _ZN7rocprim17ROCPRIM_400000_NS6detail17trampoline_kernelINS0_14default_configENS1_20scan_config_selectorIiEEZZNS1_9scan_implILNS1_25lookback_scan_determinismE0ELb0ELb0ES3_N6thrust23THRUST_200600_302600_NS6detail15normal_iteratorINS9_10device_ptrIiEEEESE_iNS9_4plusIvEEiEEDaPvRmT3_T4_T5_mT6_P12ihipStream_tbENKUlT_T0_E_clISt17integral_constantIbLb0EESU_EEDaSP_SQ_EUlSP_E_NS1_11comp_targetILNS1_3genE4ELNS1_11target_archE910ELNS1_3gpuE8ELNS1_3repE0EEENS1_30default_config_static_selectorELNS0_4arch9wavefront6targetE0EEEvT1_
	.globl	_ZN7rocprim17ROCPRIM_400000_NS6detail17trampoline_kernelINS0_14default_configENS1_20scan_config_selectorIiEEZZNS1_9scan_implILNS1_25lookback_scan_determinismE0ELb0ELb0ES3_N6thrust23THRUST_200600_302600_NS6detail15normal_iteratorINS9_10device_ptrIiEEEESE_iNS9_4plusIvEEiEEDaPvRmT3_T4_T5_mT6_P12ihipStream_tbENKUlT_T0_E_clISt17integral_constantIbLb0EESU_EEDaSP_SQ_EUlSP_E_NS1_11comp_targetILNS1_3genE4ELNS1_11target_archE910ELNS1_3gpuE8ELNS1_3repE0EEENS1_30default_config_static_selectorELNS0_4arch9wavefront6targetE0EEEvT1_
	.p2align	8
	.type	_ZN7rocprim17ROCPRIM_400000_NS6detail17trampoline_kernelINS0_14default_configENS1_20scan_config_selectorIiEEZZNS1_9scan_implILNS1_25lookback_scan_determinismE0ELb0ELb0ES3_N6thrust23THRUST_200600_302600_NS6detail15normal_iteratorINS9_10device_ptrIiEEEESE_iNS9_4plusIvEEiEEDaPvRmT3_T4_T5_mT6_P12ihipStream_tbENKUlT_T0_E_clISt17integral_constantIbLb0EESU_EEDaSP_SQ_EUlSP_E_NS1_11comp_targetILNS1_3genE4ELNS1_11target_archE910ELNS1_3gpuE8ELNS1_3repE0EEENS1_30default_config_static_selectorELNS0_4arch9wavefront6targetE0EEEvT1_,@function
_ZN7rocprim17ROCPRIM_400000_NS6detail17trampoline_kernelINS0_14default_configENS1_20scan_config_selectorIiEEZZNS1_9scan_implILNS1_25lookback_scan_determinismE0ELb0ELb0ES3_N6thrust23THRUST_200600_302600_NS6detail15normal_iteratorINS9_10device_ptrIiEEEESE_iNS9_4plusIvEEiEEDaPvRmT3_T4_T5_mT6_P12ihipStream_tbENKUlT_T0_E_clISt17integral_constantIbLb0EESU_EEDaSP_SQ_EUlSP_E_NS1_11comp_targetILNS1_3genE4ELNS1_11target_archE910ELNS1_3gpuE8ELNS1_3repE0EEENS1_30default_config_static_selectorELNS0_4arch9wavefront6targetE0EEEvT1_: ; @_ZN7rocprim17ROCPRIM_400000_NS6detail17trampoline_kernelINS0_14default_configENS1_20scan_config_selectorIiEEZZNS1_9scan_implILNS1_25lookback_scan_determinismE0ELb0ELb0ES3_N6thrust23THRUST_200600_302600_NS6detail15normal_iteratorINS9_10device_ptrIiEEEESE_iNS9_4plusIvEEiEEDaPvRmT3_T4_T5_mT6_P12ihipStream_tbENKUlT_T0_E_clISt17integral_constantIbLb0EESU_EEDaSP_SQ_EUlSP_E_NS1_11comp_targetILNS1_3genE4ELNS1_11target_archE910ELNS1_3gpuE8ELNS1_3repE0EEENS1_30default_config_static_selectorELNS0_4arch9wavefront6targetE0EEEvT1_
; %bb.0:
	.section	.rodata,"a",@progbits
	.p2align	6, 0x0
	.amdhsa_kernel _ZN7rocprim17ROCPRIM_400000_NS6detail17trampoline_kernelINS0_14default_configENS1_20scan_config_selectorIiEEZZNS1_9scan_implILNS1_25lookback_scan_determinismE0ELb0ELb0ES3_N6thrust23THRUST_200600_302600_NS6detail15normal_iteratorINS9_10device_ptrIiEEEESE_iNS9_4plusIvEEiEEDaPvRmT3_T4_T5_mT6_P12ihipStream_tbENKUlT_T0_E_clISt17integral_constantIbLb0EESU_EEDaSP_SQ_EUlSP_E_NS1_11comp_targetILNS1_3genE4ELNS1_11target_archE910ELNS1_3gpuE8ELNS1_3repE0EEENS1_30default_config_static_selectorELNS0_4arch9wavefront6targetE0EEEvT1_
		.amdhsa_group_segment_fixed_size 0
		.amdhsa_private_segment_fixed_size 0
		.amdhsa_kernarg_size 96
		.amdhsa_user_sgpr_count 15
		.amdhsa_user_sgpr_dispatch_ptr 0
		.amdhsa_user_sgpr_queue_ptr 0
		.amdhsa_user_sgpr_kernarg_segment_ptr 1
		.amdhsa_user_sgpr_dispatch_id 0
		.amdhsa_user_sgpr_private_segment_size 0
		.amdhsa_wavefront_size32 1
		.amdhsa_uses_dynamic_stack 0
		.amdhsa_enable_private_segment 0
		.amdhsa_system_sgpr_workgroup_id_x 1
		.amdhsa_system_sgpr_workgroup_id_y 0
		.amdhsa_system_sgpr_workgroup_id_z 0
		.amdhsa_system_sgpr_workgroup_info 0
		.amdhsa_system_vgpr_workitem_id 0
		.amdhsa_next_free_vgpr 1
		.amdhsa_next_free_sgpr 1
		.amdhsa_reserve_vcc 0
		.amdhsa_float_round_mode_32 0
		.amdhsa_float_round_mode_16_64 0
		.amdhsa_float_denorm_mode_32 3
		.amdhsa_float_denorm_mode_16_64 3
		.amdhsa_dx10_clamp 1
		.amdhsa_ieee_mode 1
		.amdhsa_fp16_overflow 0
		.amdhsa_workgroup_processor_mode 1
		.amdhsa_memory_ordered 1
		.amdhsa_forward_progress 0
		.amdhsa_shared_vgpr_count 0
		.amdhsa_exception_fp_ieee_invalid_op 0
		.amdhsa_exception_fp_denorm_src 0
		.amdhsa_exception_fp_ieee_div_zero 0
		.amdhsa_exception_fp_ieee_overflow 0
		.amdhsa_exception_fp_ieee_underflow 0
		.amdhsa_exception_fp_ieee_inexact 0
		.amdhsa_exception_int_div_zero 0
	.end_amdhsa_kernel
	.section	.text._ZN7rocprim17ROCPRIM_400000_NS6detail17trampoline_kernelINS0_14default_configENS1_20scan_config_selectorIiEEZZNS1_9scan_implILNS1_25lookback_scan_determinismE0ELb0ELb0ES3_N6thrust23THRUST_200600_302600_NS6detail15normal_iteratorINS9_10device_ptrIiEEEESE_iNS9_4plusIvEEiEEDaPvRmT3_T4_T5_mT6_P12ihipStream_tbENKUlT_T0_E_clISt17integral_constantIbLb0EESU_EEDaSP_SQ_EUlSP_E_NS1_11comp_targetILNS1_3genE4ELNS1_11target_archE910ELNS1_3gpuE8ELNS1_3repE0EEENS1_30default_config_static_selectorELNS0_4arch9wavefront6targetE0EEEvT1_,"axG",@progbits,_ZN7rocprim17ROCPRIM_400000_NS6detail17trampoline_kernelINS0_14default_configENS1_20scan_config_selectorIiEEZZNS1_9scan_implILNS1_25lookback_scan_determinismE0ELb0ELb0ES3_N6thrust23THRUST_200600_302600_NS6detail15normal_iteratorINS9_10device_ptrIiEEEESE_iNS9_4plusIvEEiEEDaPvRmT3_T4_T5_mT6_P12ihipStream_tbENKUlT_T0_E_clISt17integral_constantIbLb0EESU_EEDaSP_SQ_EUlSP_E_NS1_11comp_targetILNS1_3genE4ELNS1_11target_archE910ELNS1_3gpuE8ELNS1_3repE0EEENS1_30default_config_static_selectorELNS0_4arch9wavefront6targetE0EEEvT1_,comdat
.Lfunc_end5:
	.size	_ZN7rocprim17ROCPRIM_400000_NS6detail17trampoline_kernelINS0_14default_configENS1_20scan_config_selectorIiEEZZNS1_9scan_implILNS1_25lookback_scan_determinismE0ELb0ELb0ES3_N6thrust23THRUST_200600_302600_NS6detail15normal_iteratorINS9_10device_ptrIiEEEESE_iNS9_4plusIvEEiEEDaPvRmT3_T4_T5_mT6_P12ihipStream_tbENKUlT_T0_E_clISt17integral_constantIbLb0EESU_EEDaSP_SQ_EUlSP_E_NS1_11comp_targetILNS1_3genE4ELNS1_11target_archE910ELNS1_3gpuE8ELNS1_3repE0EEENS1_30default_config_static_selectorELNS0_4arch9wavefront6targetE0EEEvT1_, .Lfunc_end5-_ZN7rocprim17ROCPRIM_400000_NS6detail17trampoline_kernelINS0_14default_configENS1_20scan_config_selectorIiEEZZNS1_9scan_implILNS1_25lookback_scan_determinismE0ELb0ELb0ES3_N6thrust23THRUST_200600_302600_NS6detail15normal_iteratorINS9_10device_ptrIiEEEESE_iNS9_4plusIvEEiEEDaPvRmT3_T4_T5_mT6_P12ihipStream_tbENKUlT_T0_E_clISt17integral_constantIbLb0EESU_EEDaSP_SQ_EUlSP_E_NS1_11comp_targetILNS1_3genE4ELNS1_11target_archE910ELNS1_3gpuE8ELNS1_3repE0EEENS1_30default_config_static_selectorELNS0_4arch9wavefront6targetE0EEEvT1_
                                        ; -- End function
	.section	.AMDGPU.csdata,"",@progbits
; Kernel info:
; codeLenInByte = 0
; NumSgprs: 0
; NumVgprs: 0
; ScratchSize: 0
; MemoryBound: 0
; FloatMode: 240
; IeeeMode: 1
; LDSByteSize: 0 bytes/workgroup (compile time only)
; SGPRBlocks: 0
; VGPRBlocks: 0
; NumSGPRsForWavesPerEU: 1
; NumVGPRsForWavesPerEU: 1
; Occupancy: 16
; WaveLimiterHint : 0
; COMPUTE_PGM_RSRC2:SCRATCH_EN: 0
; COMPUTE_PGM_RSRC2:USER_SGPR: 15
; COMPUTE_PGM_RSRC2:TRAP_HANDLER: 0
; COMPUTE_PGM_RSRC2:TGID_X_EN: 1
; COMPUTE_PGM_RSRC2:TGID_Y_EN: 0
; COMPUTE_PGM_RSRC2:TGID_Z_EN: 0
; COMPUTE_PGM_RSRC2:TIDIG_COMP_CNT: 0
	.section	.text._ZN7rocprim17ROCPRIM_400000_NS6detail17trampoline_kernelINS0_14default_configENS1_20scan_config_selectorIiEEZZNS1_9scan_implILNS1_25lookback_scan_determinismE0ELb0ELb0ES3_N6thrust23THRUST_200600_302600_NS6detail15normal_iteratorINS9_10device_ptrIiEEEESE_iNS9_4plusIvEEiEEDaPvRmT3_T4_T5_mT6_P12ihipStream_tbENKUlT_T0_E_clISt17integral_constantIbLb0EESU_EEDaSP_SQ_EUlSP_E_NS1_11comp_targetILNS1_3genE3ELNS1_11target_archE908ELNS1_3gpuE7ELNS1_3repE0EEENS1_30default_config_static_selectorELNS0_4arch9wavefront6targetE0EEEvT1_,"axG",@progbits,_ZN7rocprim17ROCPRIM_400000_NS6detail17trampoline_kernelINS0_14default_configENS1_20scan_config_selectorIiEEZZNS1_9scan_implILNS1_25lookback_scan_determinismE0ELb0ELb0ES3_N6thrust23THRUST_200600_302600_NS6detail15normal_iteratorINS9_10device_ptrIiEEEESE_iNS9_4plusIvEEiEEDaPvRmT3_T4_T5_mT6_P12ihipStream_tbENKUlT_T0_E_clISt17integral_constantIbLb0EESU_EEDaSP_SQ_EUlSP_E_NS1_11comp_targetILNS1_3genE3ELNS1_11target_archE908ELNS1_3gpuE7ELNS1_3repE0EEENS1_30default_config_static_selectorELNS0_4arch9wavefront6targetE0EEEvT1_,comdat
	.protected	_ZN7rocprim17ROCPRIM_400000_NS6detail17trampoline_kernelINS0_14default_configENS1_20scan_config_selectorIiEEZZNS1_9scan_implILNS1_25lookback_scan_determinismE0ELb0ELb0ES3_N6thrust23THRUST_200600_302600_NS6detail15normal_iteratorINS9_10device_ptrIiEEEESE_iNS9_4plusIvEEiEEDaPvRmT3_T4_T5_mT6_P12ihipStream_tbENKUlT_T0_E_clISt17integral_constantIbLb0EESU_EEDaSP_SQ_EUlSP_E_NS1_11comp_targetILNS1_3genE3ELNS1_11target_archE908ELNS1_3gpuE7ELNS1_3repE0EEENS1_30default_config_static_selectorELNS0_4arch9wavefront6targetE0EEEvT1_ ; -- Begin function _ZN7rocprim17ROCPRIM_400000_NS6detail17trampoline_kernelINS0_14default_configENS1_20scan_config_selectorIiEEZZNS1_9scan_implILNS1_25lookback_scan_determinismE0ELb0ELb0ES3_N6thrust23THRUST_200600_302600_NS6detail15normal_iteratorINS9_10device_ptrIiEEEESE_iNS9_4plusIvEEiEEDaPvRmT3_T4_T5_mT6_P12ihipStream_tbENKUlT_T0_E_clISt17integral_constantIbLb0EESU_EEDaSP_SQ_EUlSP_E_NS1_11comp_targetILNS1_3genE3ELNS1_11target_archE908ELNS1_3gpuE7ELNS1_3repE0EEENS1_30default_config_static_selectorELNS0_4arch9wavefront6targetE0EEEvT1_
	.globl	_ZN7rocprim17ROCPRIM_400000_NS6detail17trampoline_kernelINS0_14default_configENS1_20scan_config_selectorIiEEZZNS1_9scan_implILNS1_25lookback_scan_determinismE0ELb0ELb0ES3_N6thrust23THRUST_200600_302600_NS6detail15normal_iteratorINS9_10device_ptrIiEEEESE_iNS9_4plusIvEEiEEDaPvRmT3_T4_T5_mT6_P12ihipStream_tbENKUlT_T0_E_clISt17integral_constantIbLb0EESU_EEDaSP_SQ_EUlSP_E_NS1_11comp_targetILNS1_3genE3ELNS1_11target_archE908ELNS1_3gpuE7ELNS1_3repE0EEENS1_30default_config_static_selectorELNS0_4arch9wavefront6targetE0EEEvT1_
	.p2align	8
	.type	_ZN7rocprim17ROCPRIM_400000_NS6detail17trampoline_kernelINS0_14default_configENS1_20scan_config_selectorIiEEZZNS1_9scan_implILNS1_25lookback_scan_determinismE0ELb0ELb0ES3_N6thrust23THRUST_200600_302600_NS6detail15normal_iteratorINS9_10device_ptrIiEEEESE_iNS9_4plusIvEEiEEDaPvRmT3_T4_T5_mT6_P12ihipStream_tbENKUlT_T0_E_clISt17integral_constantIbLb0EESU_EEDaSP_SQ_EUlSP_E_NS1_11comp_targetILNS1_3genE3ELNS1_11target_archE908ELNS1_3gpuE7ELNS1_3repE0EEENS1_30default_config_static_selectorELNS0_4arch9wavefront6targetE0EEEvT1_,@function
_ZN7rocprim17ROCPRIM_400000_NS6detail17trampoline_kernelINS0_14default_configENS1_20scan_config_selectorIiEEZZNS1_9scan_implILNS1_25lookback_scan_determinismE0ELb0ELb0ES3_N6thrust23THRUST_200600_302600_NS6detail15normal_iteratorINS9_10device_ptrIiEEEESE_iNS9_4plusIvEEiEEDaPvRmT3_T4_T5_mT6_P12ihipStream_tbENKUlT_T0_E_clISt17integral_constantIbLb0EESU_EEDaSP_SQ_EUlSP_E_NS1_11comp_targetILNS1_3genE3ELNS1_11target_archE908ELNS1_3gpuE7ELNS1_3repE0EEENS1_30default_config_static_selectorELNS0_4arch9wavefront6targetE0EEEvT1_: ; @_ZN7rocprim17ROCPRIM_400000_NS6detail17trampoline_kernelINS0_14default_configENS1_20scan_config_selectorIiEEZZNS1_9scan_implILNS1_25lookback_scan_determinismE0ELb0ELb0ES3_N6thrust23THRUST_200600_302600_NS6detail15normal_iteratorINS9_10device_ptrIiEEEESE_iNS9_4plusIvEEiEEDaPvRmT3_T4_T5_mT6_P12ihipStream_tbENKUlT_T0_E_clISt17integral_constantIbLb0EESU_EEDaSP_SQ_EUlSP_E_NS1_11comp_targetILNS1_3genE3ELNS1_11target_archE908ELNS1_3gpuE7ELNS1_3repE0EEENS1_30default_config_static_selectorELNS0_4arch9wavefront6targetE0EEEvT1_
; %bb.0:
	.section	.rodata,"a",@progbits
	.p2align	6, 0x0
	.amdhsa_kernel _ZN7rocprim17ROCPRIM_400000_NS6detail17trampoline_kernelINS0_14default_configENS1_20scan_config_selectorIiEEZZNS1_9scan_implILNS1_25lookback_scan_determinismE0ELb0ELb0ES3_N6thrust23THRUST_200600_302600_NS6detail15normal_iteratorINS9_10device_ptrIiEEEESE_iNS9_4plusIvEEiEEDaPvRmT3_T4_T5_mT6_P12ihipStream_tbENKUlT_T0_E_clISt17integral_constantIbLb0EESU_EEDaSP_SQ_EUlSP_E_NS1_11comp_targetILNS1_3genE3ELNS1_11target_archE908ELNS1_3gpuE7ELNS1_3repE0EEENS1_30default_config_static_selectorELNS0_4arch9wavefront6targetE0EEEvT1_
		.amdhsa_group_segment_fixed_size 0
		.amdhsa_private_segment_fixed_size 0
		.amdhsa_kernarg_size 96
		.amdhsa_user_sgpr_count 15
		.amdhsa_user_sgpr_dispatch_ptr 0
		.amdhsa_user_sgpr_queue_ptr 0
		.amdhsa_user_sgpr_kernarg_segment_ptr 1
		.amdhsa_user_sgpr_dispatch_id 0
		.amdhsa_user_sgpr_private_segment_size 0
		.amdhsa_wavefront_size32 1
		.amdhsa_uses_dynamic_stack 0
		.amdhsa_enable_private_segment 0
		.amdhsa_system_sgpr_workgroup_id_x 1
		.amdhsa_system_sgpr_workgroup_id_y 0
		.amdhsa_system_sgpr_workgroup_id_z 0
		.amdhsa_system_sgpr_workgroup_info 0
		.amdhsa_system_vgpr_workitem_id 0
		.amdhsa_next_free_vgpr 1
		.amdhsa_next_free_sgpr 1
		.amdhsa_reserve_vcc 0
		.amdhsa_float_round_mode_32 0
		.amdhsa_float_round_mode_16_64 0
		.amdhsa_float_denorm_mode_32 3
		.amdhsa_float_denorm_mode_16_64 3
		.amdhsa_dx10_clamp 1
		.amdhsa_ieee_mode 1
		.amdhsa_fp16_overflow 0
		.amdhsa_workgroup_processor_mode 1
		.amdhsa_memory_ordered 1
		.amdhsa_forward_progress 0
		.amdhsa_shared_vgpr_count 0
		.amdhsa_exception_fp_ieee_invalid_op 0
		.amdhsa_exception_fp_denorm_src 0
		.amdhsa_exception_fp_ieee_div_zero 0
		.amdhsa_exception_fp_ieee_overflow 0
		.amdhsa_exception_fp_ieee_underflow 0
		.amdhsa_exception_fp_ieee_inexact 0
		.amdhsa_exception_int_div_zero 0
	.end_amdhsa_kernel
	.section	.text._ZN7rocprim17ROCPRIM_400000_NS6detail17trampoline_kernelINS0_14default_configENS1_20scan_config_selectorIiEEZZNS1_9scan_implILNS1_25lookback_scan_determinismE0ELb0ELb0ES3_N6thrust23THRUST_200600_302600_NS6detail15normal_iteratorINS9_10device_ptrIiEEEESE_iNS9_4plusIvEEiEEDaPvRmT3_T4_T5_mT6_P12ihipStream_tbENKUlT_T0_E_clISt17integral_constantIbLb0EESU_EEDaSP_SQ_EUlSP_E_NS1_11comp_targetILNS1_3genE3ELNS1_11target_archE908ELNS1_3gpuE7ELNS1_3repE0EEENS1_30default_config_static_selectorELNS0_4arch9wavefront6targetE0EEEvT1_,"axG",@progbits,_ZN7rocprim17ROCPRIM_400000_NS6detail17trampoline_kernelINS0_14default_configENS1_20scan_config_selectorIiEEZZNS1_9scan_implILNS1_25lookback_scan_determinismE0ELb0ELb0ES3_N6thrust23THRUST_200600_302600_NS6detail15normal_iteratorINS9_10device_ptrIiEEEESE_iNS9_4plusIvEEiEEDaPvRmT3_T4_T5_mT6_P12ihipStream_tbENKUlT_T0_E_clISt17integral_constantIbLb0EESU_EEDaSP_SQ_EUlSP_E_NS1_11comp_targetILNS1_3genE3ELNS1_11target_archE908ELNS1_3gpuE7ELNS1_3repE0EEENS1_30default_config_static_selectorELNS0_4arch9wavefront6targetE0EEEvT1_,comdat
.Lfunc_end6:
	.size	_ZN7rocprim17ROCPRIM_400000_NS6detail17trampoline_kernelINS0_14default_configENS1_20scan_config_selectorIiEEZZNS1_9scan_implILNS1_25lookback_scan_determinismE0ELb0ELb0ES3_N6thrust23THRUST_200600_302600_NS6detail15normal_iteratorINS9_10device_ptrIiEEEESE_iNS9_4plusIvEEiEEDaPvRmT3_T4_T5_mT6_P12ihipStream_tbENKUlT_T0_E_clISt17integral_constantIbLb0EESU_EEDaSP_SQ_EUlSP_E_NS1_11comp_targetILNS1_3genE3ELNS1_11target_archE908ELNS1_3gpuE7ELNS1_3repE0EEENS1_30default_config_static_selectorELNS0_4arch9wavefront6targetE0EEEvT1_, .Lfunc_end6-_ZN7rocprim17ROCPRIM_400000_NS6detail17trampoline_kernelINS0_14default_configENS1_20scan_config_selectorIiEEZZNS1_9scan_implILNS1_25lookback_scan_determinismE0ELb0ELb0ES3_N6thrust23THRUST_200600_302600_NS6detail15normal_iteratorINS9_10device_ptrIiEEEESE_iNS9_4plusIvEEiEEDaPvRmT3_T4_T5_mT6_P12ihipStream_tbENKUlT_T0_E_clISt17integral_constantIbLb0EESU_EEDaSP_SQ_EUlSP_E_NS1_11comp_targetILNS1_3genE3ELNS1_11target_archE908ELNS1_3gpuE7ELNS1_3repE0EEENS1_30default_config_static_selectorELNS0_4arch9wavefront6targetE0EEEvT1_
                                        ; -- End function
	.section	.AMDGPU.csdata,"",@progbits
; Kernel info:
; codeLenInByte = 0
; NumSgprs: 0
; NumVgprs: 0
; ScratchSize: 0
; MemoryBound: 0
; FloatMode: 240
; IeeeMode: 1
; LDSByteSize: 0 bytes/workgroup (compile time only)
; SGPRBlocks: 0
; VGPRBlocks: 0
; NumSGPRsForWavesPerEU: 1
; NumVGPRsForWavesPerEU: 1
; Occupancy: 16
; WaveLimiterHint : 0
; COMPUTE_PGM_RSRC2:SCRATCH_EN: 0
; COMPUTE_PGM_RSRC2:USER_SGPR: 15
; COMPUTE_PGM_RSRC2:TRAP_HANDLER: 0
; COMPUTE_PGM_RSRC2:TGID_X_EN: 1
; COMPUTE_PGM_RSRC2:TGID_Y_EN: 0
; COMPUTE_PGM_RSRC2:TGID_Z_EN: 0
; COMPUTE_PGM_RSRC2:TIDIG_COMP_CNT: 0
	.section	.text._ZN7rocprim17ROCPRIM_400000_NS6detail17trampoline_kernelINS0_14default_configENS1_20scan_config_selectorIiEEZZNS1_9scan_implILNS1_25lookback_scan_determinismE0ELb0ELb0ES3_N6thrust23THRUST_200600_302600_NS6detail15normal_iteratorINS9_10device_ptrIiEEEESE_iNS9_4plusIvEEiEEDaPvRmT3_T4_T5_mT6_P12ihipStream_tbENKUlT_T0_E_clISt17integral_constantIbLb0EESU_EEDaSP_SQ_EUlSP_E_NS1_11comp_targetILNS1_3genE2ELNS1_11target_archE906ELNS1_3gpuE6ELNS1_3repE0EEENS1_30default_config_static_selectorELNS0_4arch9wavefront6targetE0EEEvT1_,"axG",@progbits,_ZN7rocprim17ROCPRIM_400000_NS6detail17trampoline_kernelINS0_14default_configENS1_20scan_config_selectorIiEEZZNS1_9scan_implILNS1_25lookback_scan_determinismE0ELb0ELb0ES3_N6thrust23THRUST_200600_302600_NS6detail15normal_iteratorINS9_10device_ptrIiEEEESE_iNS9_4plusIvEEiEEDaPvRmT3_T4_T5_mT6_P12ihipStream_tbENKUlT_T0_E_clISt17integral_constantIbLb0EESU_EEDaSP_SQ_EUlSP_E_NS1_11comp_targetILNS1_3genE2ELNS1_11target_archE906ELNS1_3gpuE6ELNS1_3repE0EEENS1_30default_config_static_selectorELNS0_4arch9wavefront6targetE0EEEvT1_,comdat
	.protected	_ZN7rocprim17ROCPRIM_400000_NS6detail17trampoline_kernelINS0_14default_configENS1_20scan_config_selectorIiEEZZNS1_9scan_implILNS1_25lookback_scan_determinismE0ELb0ELb0ES3_N6thrust23THRUST_200600_302600_NS6detail15normal_iteratorINS9_10device_ptrIiEEEESE_iNS9_4plusIvEEiEEDaPvRmT3_T4_T5_mT6_P12ihipStream_tbENKUlT_T0_E_clISt17integral_constantIbLb0EESU_EEDaSP_SQ_EUlSP_E_NS1_11comp_targetILNS1_3genE2ELNS1_11target_archE906ELNS1_3gpuE6ELNS1_3repE0EEENS1_30default_config_static_selectorELNS0_4arch9wavefront6targetE0EEEvT1_ ; -- Begin function _ZN7rocprim17ROCPRIM_400000_NS6detail17trampoline_kernelINS0_14default_configENS1_20scan_config_selectorIiEEZZNS1_9scan_implILNS1_25lookback_scan_determinismE0ELb0ELb0ES3_N6thrust23THRUST_200600_302600_NS6detail15normal_iteratorINS9_10device_ptrIiEEEESE_iNS9_4plusIvEEiEEDaPvRmT3_T4_T5_mT6_P12ihipStream_tbENKUlT_T0_E_clISt17integral_constantIbLb0EESU_EEDaSP_SQ_EUlSP_E_NS1_11comp_targetILNS1_3genE2ELNS1_11target_archE906ELNS1_3gpuE6ELNS1_3repE0EEENS1_30default_config_static_selectorELNS0_4arch9wavefront6targetE0EEEvT1_
	.globl	_ZN7rocprim17ROCPRIM_400000_NS6detail17trampoline_kernelINS0_14default_configENS1_20scan_config_selectorIiEEZZNS1_9scan_implILNS1_25lookback_scan_determinismE0ELb0ELb0ES3_N6thrust23THRUST_200600_302600_NS6detail15normal_iteratorINS9_10device_ptrIiEEEESE_iNS9_4plusIvEEiEEDaPvRmT3_T4_T5_mT6_P12ihipStream_tbENKUlT_T0_E_clISt17integral_constantIbLb0EESU_EEDaSP_SQ_EUlSP_E_NS1_11comp_targetILNS1_3genE2ELNS1_11target_archE906ELNS1_3gpuE6ELNS1_3repE0EEENS1_30default_config_static_selectorELNS0_4arch9wavefront6targetE0EEEvT1_
	.p2align	8
	.type	_ZN7rocprim17ROCPRIM_400000_NS6detail17trampoline_kernelINS0_14default_configENS1_20scan_config_selectorIiEEZZNS1_9scan_implILNS1_25lookback_scan_determinismE0ELb0ELb0ES3_N6thrust23THRUST_200600_302600_NS6detail15normal_iteratorINS9_10device_ptrIiEEEESE_iNS9_4plusIvEEiEEDaPvRmT3_T4_T5_mT6_P12ihipStream_tbENKUlT_T0_E_clISt17integral_constantIbLb0EESU_EEDaSP_SQ_EUlSP_E_NS1_11comp_targetILNS1_3genE2ELNS1_11target_archE906ELNS1_3gpuE6ELNS1_3repE0EEENS1_30default_config_static_selectorELNS0_4arch9wavefront6targetE0EEEvT1_,@function
_ZN7rocprim17ROCPRIM_400000_NS6detail17trampoline_kernelINS0_14default_configENS1_20scan_config_selectorIiEEZZNS1_9scan_implILNS1_25lookback_scan_determinismE0ELb0ELb0ES3_N6thrust23THRUST_200600_302600_NS6detail15normal_iteratorINS9_10device_ptrIiEEEESE_iNS9_4plusIvEEiEEDaPvRmT3_T4_T5_mT6_P12ihipStream_tbENKUlT_T0_E_clISt17integral_constantIbLb0EESU_EEDaSP_SQ_EUlSP_E_NS1_11comp_targetILNS1_3genE2ELNS1_11target_archE906ELNS1_3gpuE6ELNS1_3repE0EEENS1_30default_config_static_selectorELNS0_4arch9wavefront6targetE0EEEvT1_: ; @_ZN7rocprim17ROCPRIM_400000_NS6detail17trampoline_kernelINS0_14default_configENS1_20scan_config_selectorIiEEZZNS1_9scan_implILNS1_25lookback_scan_determinismE0ELb0ELb0ES3_N6thrust23THRUST_200600_302600_NS6detail15normal_iteratorINS9_10device_ptrIiEEEESE_iNS9_4plusIvEEiEEDaPvRmT3_T4_T5_mT6_P12ihipStream_tbENKUlT_T0_E_clISt17integral_constantIbLb0EESU_EEDaSP_SQ_EUlSP_E_NS1_11comp_targetILNS1_3genE2ELNS1_11target_archE906ELNS1_3gpuE6ELNS1_3repE0EEENS1_30default_config_static_selectorELNS0_4arch9wavefront6targetE0EEEvT1_
; %bb.0:
	.section	.rodata,"a",@progbits
	.p2align	6, 0x0
	.amdhsa_kernel _ZN7rocprim17ROCPRIM_400000_NS6detail17trampoline_kernelINS0_14default_configENS1_20scan_config_selectorIiEEZZNS1_9scan_implILNS1_25lookback_scan_determinismE0ELb0ELb0ES3_N6thrust23THRUST_200600_302600_NS6detail15normal_iteratorINS9_10device_ptrIiEEEESE_iNS9_4plusIvEEiEEDaPvRmT3_T4_T5_mT6_P12ihipStream_tbENKUlT_T0_E_clISt17integral_constantIbLb0EESU_EEDaSP_SQ_EUlSP_E_NS1_11comp_targetILNS1_3genE2ELNS1_11target_archE906ELNS1_3gpuE6ELNS1_3repE0EEENS1_30default_config_static_selectorELNS0_4arch9wavefront6targetE0EEEvT1_
		.amdhsa_group_segment_fixed_size 0
		.amdhsa_private_segment_fixed_size 0
		.amdhsa_kernarg_size 96
		.amdhsa_user_sgpr_count 15
		.amdhsa_user_sgpr_dispatch_ptr 0
		.amdhsa_user_sgpr_queue_ptr 0
		.amdhsa_user_sgpr_kernarg_segment_ptr 1
		.amdhsa_user_sgpr_dispatch_id 0
		.amdhsa_user_sgpr_private_segment_size 0
		.amdhsa_wavefront_size32 1
		.amdhsa_uses_dynamic_stack 0
		.amdhsa_enable_private_segment 0
		.amdhsa_system_sgpr_workgroup_id_x 1
		.amdhsa_system_sgpr_workgroup_id_y 0
		.amdhsa_system_sgpr_workgroup_id_z 0
		.amdhsa_system_sgpr_workgroup_info 0
		.amdhsa_system_vgpr_workitem_id 0
		.amdhsa_next_free_vgpr 1
		.amdhsa_next_free_sgpr 1
		.amdhsa_reserve_vcc 0
		.amdhsa_float_round_mode_32 0
		.amdhsa_float_round_mode_16_64 0
		.amdhsa_float_denorm_mode_32 3
		.amdhsa_float_denorm_mode_16_64 3
		.amdhsa_dx10_clamp 1
		.amdhsa_ieee_mode 1
		.amdhsa_fp16_overflow 0
		.amdhsa_workgroup_processor_mode 1
		.amdhsa_memory_ordered 1
		.amdhsa_forward_progress 0
		.amdhsa_shared_vgpr_count 0
		.amdhsa_exception_fp_ieee_invalid_op 0
		.amdhsa_exception_fp_denorm_src 0
		.amdhsa_exception_fp_ieee_div_zero 0
		.amdhsa_exception_fp_ieee_overflow 0
		.amdhsa_exception_fp_ieee_underflow 0
		.amdhsa_exception_fp_ieee_inexact 0
		.amdhsa_exception_int_div_zero 0
	.end_amdhsa_kernel
	.section	.text._ZN7rocprim17ROCPRIM_400000_NS6detail17trampoline_kernelINS0_14default_configENS1_20scan_config_selectorIiEEZZNS1_9scan_implILNS1_25lookback_scan_determinismE0ELb0ELb0ES3_N6thrust23THRUST_200600_302600_NS6detail15normal_iteratorINS9_10device_ptrIiEEEESE_iNS9_4plusIvEEiEEDaPvRmT3_T4_T5_mT6_P12ihipStream_tbENKUlT_T0_E_clISt17integral_constantIbLb0EESU_EEDaSP_SQ_EUlSP_E_NS1_11comp_targetILNS1_3genE2ELNS1_11target_archE906ELNS1_3gpuE6ELNS1_3repE0EEENS1_30default_config_static_selectorELNS0_4arch9wavefront6targetE0EEEvT1_,"axG",@progbits,_ZN7rocprim17ROCPRIM_400000_NS6detail17trampoline_kernelINS0_14default_configENS1_20scan_config_selectorIiEEZZNS1_9scan_implILNS1_25lookback_scan_determinismE0ELb0ELb0ES3_N6thrust23THRUST_200600_302600_NS6detail15normal_iteratorINS9_10device_ptrIiEEEESE_iNS9_4plusIvEEiEEDaPvRmT3_T4_T5_mT6_P12ihipStream_tbENKUlT_T0_E_clISt17integral_constantIbLb0EESU_EEDaSP_SQ_EUlSP_E_NS1_11comp_targetILNS1_3genE2ELNS1_11target_archE906ELNS1_3gpuE6ELNS1_3repE0EEENS1_30default_config_static_selectorELNS0_4arch9wavefront6targetE0EEEvT1_,comdat
.Lfunc_end7:
	.size	_ZN7rocprim17ROCPRIM_400000_NS6detail17trampoline_kernelINS0_14default_configENS1_20scan_config_selectorIiEEZZNS1_9scan_implILNS1_25lookback_scan_determinismE0ELb0ELb0ES3_N6thrust23THRUST_200600_302600_NS6detail15normal_iteratorINS9_10device_ptrIiEEEESE_iNS9_4plusIvEEiEEDaPvRmT3_T4_T5_mT6_P12ihipStream_tbENKUlT_T0_E_clISt17integral_constantIbLb0EESU_EEDaSP_SQ_EUlSP_E_NS1_11comp_targetILNS1_3genE2ELNS1_11target_archE906ELNS1_3gpuE6ELNS1_3repE0EEENS1_30default_config_static_selectorELNS0_4arch9wavefront6targetE0EEEvT1_, .Lfunc_end7-_ZN7rocprim17ROCPRIM_400000_NS6detail17trampoline_kernelINS0_14default_configENS1_20scan_config_selectorIiEEZZNS1_9scan_implILNS1_25lookback_scan_determinismE0ELb0ELb0ES3_N6thrust23THRUST_200600_302600_NS6detail15normal_iteratorINS9_10device_ptrIiEEEESE_iNS9_4plusIvEEiEEDaPvRmT3_T4_T5_mT6_P12ihipStream_tbENKUlT_T0_E_clISt17integral_constantIbLb0EESU_EEDaSP_SQ_EUlSP_E_NS1_11comp_targetILNS1_3genE2ELNS1_11target_archE906ELNS1_3gpuE6ELNS1_3repE0EEENS1_30default_config_static_selectorELNS0_4arch9wavefront6targetE0EEEvT1_
                                        ; -- End function
	.section	.AMDGPU.csdata,"",@progbits
; Kernel info:
; codeLenInByte = 0
; NumSgprs: 0
; NumVgprs: 0
; ScratchSize: 0
; MemoryBound: 0
; FloatMode: 240
; IeeeMode: 1
; LDSByteSize: 0 bytes/workgroup (compile time only)
; SGPRBlocks: 0
; VGPRBlocks: 0
; NumSGPRsForWavesPerEU: 1
; NumVGPRsForWavesPerEU: 1
; Occupancy: 16
; WaveLimiterHint : 0
; COMPUTE_PGM_RSRC2:SCRATCH_EN: 0
; COMPUTE_PGM_RSRC2:USER_SGPR: 15
; COMPUTE_PGM_RSRC2:TRAP_HANDLER: 0
; COMPUTE_PGM_RSRC2:TGID_X_EN: 1
; COMPUTE_PGM_RSRC2:TGID_Y_EN: 0
; COMPUTE_PGM_RSRC2:TGID_Z_EN: 0
; COMPUTE_PGM_RSRC2:TIDIG_COMP_CNT: 0
	.section	.text._ZN7rocprim17ROCPRIM_400000_NS6detail17trampoline_kernelINS0_14default_configENS1_20scan_config_selectorIiEEZZNS1_9scan_implILNS1_25lookback_scan_determinismE0ELb0ELb0ES3_N6thrust23THRUST_200600_302600_NS6detail15normal_iteratorINS9_10device_ptrIiEEEESE_iNS9_4plusIvEEiEEDaPvRmT3_T4_T5_mT6_P12ihipStream_tbENKUlT_T0_E_clISt17integral_constantIbLb0EESU_EEDaSP_SQ_EUlSP_E_NS1_11comp_targetILNS1_3genE10ELNS1_11target_archE1201ELNS1_3gpuE5ELNS1_3repE0EEENS1_30default_config_static_selectorELNS0_4arch9wavefront6targetE0EEEvT1_,"axG",@progbits,_ZN7rocprim17ROCPRIM_400000_NS6detail17trampoline_kernelINS0_14default_configENS1_20scan_config_selectorIiEEZZNS1_9scan_implILNS1_25lookback_scan_determinismE0ELb0ELb0ES3_N6thrust23THRUST_200600_302600_NS6detail15normal_iteratorINS9_10device_ptrIiEEEESE_iNS9_4plusIvEEiEEDaPvRmT3_T4_T5_mT6_P12ihipStream_tbENKUlT_T0_E_clISt17integral_constantIbLb0EESU_EEDaSP_SQ_EUlSP_E_NS1_11comp_targetILNS1_3genE10ELNS1_11target_archE1201ELNS1_3gpuE5ELNS1_3repE0EEENS1_30default_config_static_selectorELNS0_4arch9wavefront6targetE0EEEvT1_,comdat
	.protected	_ZN7rocprim17ROCPRIM_400000_NS6detail17trampoline_kernelINS0_14default_configENS1_20scan_config_selectorIiEEZZNS1_9scan_implILNS1_25lookback_scan_determinismE0ELb0ELb0ES3_N6thrust23THRUST_200600_302600_NS6detail15normal_iteratorINS9_10device_ptrIiEEEESE_iNS9_4plusIvEEiEEDaPvRmT3_T4_T5_mT6_P12ihipStream_tbENKUlT_T0_E_clISt17integral_constantIbLb0EESU_EEDaSP_SQ_EUlSP_E_NS1_11comp_targetILNS1_3genE10ELNS1_11target_archE1201ELNS1_3gpuE5ELNS1_3repE0EEENS1_30default_config_static_selectorELNS0_4arch9wavefront6targetE0EEEvT1_ ; -- Begin function _ZN7rocprim17ROCPRIM_400000_NS6detail17trampoline_kernelINS0_14default_configENS1_20scan_config_selectorIiEEZZNS1_9scan_implILNS1_25lookback_scan_determinismE0ELb0ELb0ES3_N6thrust23THRUST_200600_302600_NS6detail15normal_iteratorINS9_10device_ptrIiEEEESE_iNS9_4plusIvEEiEEDaPvRmT3_T4_T5_mT6_P12ihipStream_tbENKUlT_T0_E_clISt17integral_constantIbLb0EESU_EEDaSP_SQ_EUlSP_E_NS1_11comp_targetILNS1_3genE10ELNS1_11target_archE1201ELNS1_3gpuE5ELNS1_3repE0EEENS1_30default_config_static_selectorELNS0_4arch9wavefront6targetE0EEEvT1_
	.globl	_ZN7rocprim17ROCPRIM_400000_NS6detail17trampoline_kernelINS0_14default_configENS1_20scan_config_selectorIiEEZZNS1_9scan_implILNS1_25lookback_scan_determinismE0ELb0ELb0ES3_N6thrust23THRUST_200600_302600_NS6detail15normal_iteratorINS9_10device_ptrIiEEEESE_iNS9_4plusIvEEiEEDaPvRmT3_T4_T5_mT6_P12ihipStream_tbENKUlT_T0_E_clISt17integral_constantIbLb0EESU_EEDaSP_SQ_EUlSP_E_NS1_11comp_targetILNS1_3genE10ELNS1_11target_archE1201ELNS1_3gpuE5ELNS1_3repE0EEENS1_30default_config_static_selectorELNS0_4arch9wavefront6targetE0EEEvT1_
	.p2align	8
	.type	_ZN7rocprim17ROCPRIM_400000_NS6detail17trampoline_kernelINS0_14default_configENS1_20scan_config_selectorIiEEZZNS1_9scan_implILNS1_25lookback_scan_determinismE0ELb0ELb0ES3_N6thrust23THRUST_200600_302600_NS6detail15normal_iteratorINS9_10device_ptrIiEEEESE_iNS9_4plusIvEEiEEDaPvRmT3_T4_T5_mT6_P12ihipStream_tbENKUlT_T0_E_clISt17integral_constantIbLb0EESU_EEDaSP_SQ_EUlSP_E_NS1_11comp_targetILNS1_3genE10ELNS1_11target_archE1201ELNS1_3gpuE5ELNS1_3repE0EEENS1_30default_config_static_selectorELNS0_4arch9wavefront6targetE0EEEvT1_,@function
_ZN7rocprim17ROCPRIM_400000_NS6detail17trampoline_kernelINS0_14default_configENS1_20scan_config_selectorIiEEZZNS1_9scan_implILNS1_25lookback_scan_determinismE0ELb0ELb0ES3_N6thrust23THRUST_200600_302600_NS6detail15normal_iteratorINS9_10device_ptrIiEEEESE_iNS9_4plusIvEEiEEDaPvRmT3_T4_T5_mT6_P12ihipStream_tbENKUlT_T0_E_clISt17integral_constantIbLb0EESU_EEDaSP_SQ_EUlSP_E_NS1_11comp_targetILNS1_3genE10ELNS1_11target_archE1201ELNS1_3gpuE5ELNS1_3repE0EEENS1_30default_config_static_selectorELNS0_4arch9wavefront6targetE0EEEvT1_: ; @_ZN7rocprim17ROCPRIM_400000_NS6detail17trampoline_kernelINS0_14default_configENS1_20scan_config_selectorIiEEZZNS1_9scan_implILNS1_25lookback_scan_determinismE0ELb0ELb0ES3_N6thrust23THRUST_200600_302600_NS6detail15normal_iteratorINS9_10device_ptrIiEEEESE_iNS9_4plusIvEEiEEDaPvRmT3_T4_T5_mT6_P12ihipStream_tbENKUlT_T0_E_clISt17integral_constantIbLb0EESU_EEDaSP_SQ_EUlSP_E_NS1_11comp_targetILNS1_3genE10ELNS1_11target_archE1201ELNS1_3gpuE5ELNS1_3repE0EEENS1_30default_config_static_selectorELNS0_4arch9wavefront6targetE0EEEvT1_
; %bb.0:
	.section	.rodata,"a",@progbits
	.p2align	6, 0x0
	.amdhsa_kernel _ZN7rocprim17ROCPRIM_400000_NS6detail17trampoline_kernelINS0_14default_configENS1_20scan_config_selectorIiEEZZNS1_9scan_implILNS1_25lookback_scan_determinismE0ELb0ELb0ES3_N6thrust23THRUST_200600_302600_NS6detail15normal_iteratorINS9_10device_ptrIiEEEESE_iNS9_4plusIvEEiEEDaPvRmT3_T4_T5_mT6_P12ihipStream_tbENKUlT_T0_E_clISt17integral_constantIbLb0EESU_EEDaSP_SQ_EUlSP_E_NS1_11comp_targetILNS1_3genE10ELNS1_11target_archE1201ELNS1_3gpuE5ELNS1_3repE0EEENS1_30default_config_static_selectorELNS0_4arch9wavefront6targetE0EEEvT1_
		.amdhsa_group_segment_fixed_size 0
		.amdhsa_private_segment_fixed_size 0
		.amdhsa_kernarg_size 96
		.amdhsa_user_sgpr_count 15
		.amdhsa_user_sgpr_dispatch_ptr 0
		.amdhsa_user_sgpr_queue_ptr 0
		.amdhsa_user_sgpr_kernarg_segment_ptr 1
		.amdhsa_user_sgpr_dispatch_id 0
		.amdhsa_user_sgpr_private_segment_size 0
		.amdhsa_wavefront_size32 1
		.amdhsa_uses_dynamic_stack 0
		.amdhsa_enable_private_segment 0
		.amdhsa_system_sgpr_workgroup_id_x 1
		.amdhsa_system_sgpr_workgroup_id_y 0
		.amdhsa_system_sgpr_workgroup_id_z 0
		.amdhsa_system_sgpr_workgroup_info 0
		.amdhsa_system_vgpr_workitem_id 0
		.amdhsa_next_free_vgpr 1
		.amdhsa_next_free_sgpr 1
		.amdhsa_reserve_vcc 0
		.amdhsa_float_round_mode_32 0
		.amdhsa_float_round_mode_16_64 0
		.amdhsa_float_denorm_mode_32 3
		.amdhsa_float_denorm_mode_16_64 3
		.amdhsa_dx10_clamp 1
		.amdhsa_ieee_mode 1
		.amdhsa_fp16_overflow 0
		.amdhsa_workgroup_processor_mode 1
		.amdhsa_memory_ordered 1
		.amdhsa_forward_progress 0
		.amdhsa_shared_vgpr_count 0
		.amdhsa_exception_fp_ieee_invalid_op 0
		.amdhsa_exception_fp_denorm_src 0
		.amdhsa_exception_fp_ieee_div_zero 0
		.amdhsa_exception_fp_ieee_overflow 0
		.amdhsa_exception_fp_ieee_underflow 0
		.amdhsa_exception_fp_ieee_inexact 0
		.amdhsa_exception_int_div_zero 0
	.end_amdhsa_kernel
	.section	.text._ZN7rocprim17ROCPRIM_400000_NS6detail17trampoline_kernelINS0_14default_configENS1_20scan_config_selectorIiEEZZNS1_9scan_implILNS1_25lookback_scan_determinismE0ELb0ELb0ES3_N6thrust23THRUST_200600_302600_NS6detail15normal_iteratorINS9_10device_ptrIiEEEESE_iNS9_4plusIvEEiEEDaPvRmT3_T4_T5_mT6_P12ihipStream_tbENKUlT_T0_E_clISt17integral_constantIbLb0EESU_EEDaSP_SQ_EUlSP_E_NS1_11comp_targetILNS1_3genE10ELNS1_11target_archE1201ELNS1_3gpuE5ELNS1_3repE0EEENS1_30default_config_static_selectorELNS0_4arch9wavefront6targetE0EEEvT1_,"axG",@progbits,_ZN7rocprim17ROCPRIM_400000_NS6detail17trampoline_kernelINS0_14default_configENS1_20scan_config_selectorIiEEZZNS1_9scan_implILNS1_25lookback_scan_determinismE0ELb0ELb0ES3_N6thrust23THRUST_200600_302600_NS6detail15normal_iteratorINS9_10device_ptrIiEEEESE_iNS9_4plusIvEEiEEDaPvRmT3_T4_T5_mT6_P12ihipStream_tbENKUlT_T0_E_clISt17integral_constantIbLb0EESU_EEDaSP_SQ_EUlSP_E_NS1_11comp_targetILNS1_3genE10ELNS1_11target_archE1201ELNS1_3gpuE5ELNS1_3repE0EEENS1_30default_config_static_selectorELNS0_4arch9wavefront6targetE0EEEvT1_,comdat
.Lfunc_end8:
	.size	_ZN7rocprim17ROCPRIM_400000_NS6detail17trampoline_kernelINS0_14default_configENS1_20scan_config_selectorIiEEZZNS1_9scan_implILNS1_25lookback_scan_determinismE0ELb0ELb0ES3_N6thrust23THRUST_200600_302600_NS6detail15normal_iteratorINS9_10device_ptrIiEEEESE_iNS9_4plusIvEEiEEDaPvRmT3_T4_T5_mT6_P12ihipStream_tbENKUlT_T0_E_clISt17integral_constantIbLb0EESU_EEDaSP_SQ_EUlSP_E_NS1_11comp_targetILNS1_3genE10ELNS1_11target_archE1201ELNS1_3gpuE5ELNS1_3repE0EEENS1_30default_config_static_selectorELNS0_4arch9wavefront6targetE0EEEvT1_, .Lfunc_end8-_ZN7rocprim17ROCPRIM_400000_NS6detail17trampoline_kernelINS0_14default_configENS1_20scan_config_selectorIiEEZZNS1_9scan_implILNS1_25lookback_scan_determinismE0ELb0ELb0ES3_N6thrust23THRUST_200600_302600_NS6detail15normal_iteratorINS9_10device_ptrIiEEEESE_iNS9_4plusIvEEiEEDaPvRmT3_T4_T5_mT6_P12ihipStream_tbENKUlT_T0_E_clISt17integral_constantIbLb0EESU_EEDaSP_SQ_EUlSP_E_NS1_11comp_targetILNS1_3genE10ELNS1_11target_archE1201ELNS1_3gpuE5ELNS1_3repE0EEENS1_30default_config_static_selectorELNS0_4arch9wavefront6targetE0EEEvT1_
                                        ; -- End function
	.section	.AMDGPU.csdata,"",@progbits
; Kernel info:
; codeLenInByte = 0
; NumSgprs: 0
; NumVgprs: 0
; ScratchSize: 0
; MemoryBound: 0
; FloatMode: 240
; IeeeMode: 1
; LDSByteSize: 0 bytes/workgroup (compile time only)
; SGPRBlocks: 0
; VGPRBlocks: 0
; NumSGPRsForWavesPerEU: 1
; NumVGPRsForWavesPerEU: 1
; Occupancy: 16
; WaveLimiterHint : 0
; COMPUTE_PGM_RSRC2:SCRATCH_EN: 0
; COMPUTE_PGM_RSRC2:USER_SGPR: 15
; COMPUTE_PGM_RSRC2:TRAP_HANDLER: 0
; COMPUTE_PGM_RSRC2:TGID_X_EN: 1
; COMPUTE_PGM_RSRC2:TGID_Y_EN: 0
; COMPUTE_PGM_RSRC2:TGID_Z_EN: 0
; COMPUTE_PGM_RSRC2:TIDIG_COMP_CNT: 0
	.section	.text._ZN7rocprim17ROCPRIM_400000_NS6detail17trampoline_kernelINS0_14default_configENS1_20scan_config_selectorIiEEZZNS1_9scan_implILNS1_25lookback_scan_determinismE0ELb0ELb0ES3_N6thrust23THRUST_200600_302600_NS6detail15normal_iteratorINS9_10device_ptrIiEEEESE_iNS9_4plusIvEEiEEDaPvRmT3_T4_T5_mT6_P12ihipStream_tbENKUlT_T0_E_clISt17integral_constantIbLb0EESU_EEDaSP_SQ_EUlSP_E_NS1_11comp_targetILNS1_3genE10ELNS1_11target_archE1200ELNS1_3gpuE4ELNS1_3repE0EEENS1_30default_config_static_selectorELNS0_4arch9wavefront6targetE0EEEvT1_,"axG",@progbits,_ZN7rocprim17ROCPRIM_400000_NS6detail17trampoline_kernelINS0_14default_configENS1_20scan_config_selectorIiEEZZNS1_9scan_implILNS1_25lookback_scan_determinismE0ELb0ELb0ES3_N6thrust23THRUST_200600_302600_NS6detail15normal_iteratorINS9_10device_ptrIiEEEESE_iNS9_4plusIvEEiEEDaPvRmT3_T4_T5_mT6_P12ihipStream_tbENKUlT_T0_E_clISt17integral_constantIbLb0EESU_EEDaSP_SQ_EUlSP_E_NS1_11comp_targetILNS1_3genE10ELNS1_11target_archE1200ELNS1_3gpuE4ELNS1_3repE0EEENS1_30default_config_static_selectorELNS0_4arch9wavefront6targetE0EEEvT1_,comdat
	.protected	_ZN7rocprim17ROCPRIM_400000_NS6detail17trampoline_kernelINS0_14default_configENS1_20scan_config_selectorIiEEZZNS1_9scan_implILNS1_25lookback_scan_determinismE0ELb0ELb0ES3_N6thrust23THRUST_200600_302600_NS6detail15normal_iteratorINS9_10device_ptrIiEEEESE_iNS9_4plusIvEEiEEDaPvRmT3_T4_T5_mT6_P12ihipStream_tbENKUlT_T0_E_clISt17integral_constantIbLb0EESU_EEDaSP_SQ_EUlSP_E_NS1_11comp_targetILNS1_3genE10ELNS1_11target_archE1200ELNS1_3gpuE4ELNS1_3repE0EEENS1_30default_config_static_selectorELNS0_4arch9wavefront6targetE0EEEvT1_ ; -- Begin function _ZN7rocprim17ROCPRIM_400000_NS6detail17trampoline_kernelINS0_14default_configENS1_20scan_config_selectorIiEEZZNS1_9scan_implILNS1_25lookback_scan_determinismE0ELb0ELb0ES3_N6thrust23THRUST_200600_302600_NS6detail15normal_iteratorINS9_10device_ptrIiEEEESE_iNS9_4plusIvEEiEEDaPvRmT3_T4_T5_mT6_P12ihipStream_tbENKUlT_T0_E_clISt17integral_constantIbLb0EESU_EEDaSP_SQ_EUlSP_E_NS1_11comp_targetILNS1_3genE10ELNS1_11target_archE1200ELNS1_3gpuE4ELNS1_3repE0EEENS1_30default_config_static_selectorELNS0_4arch9wavefront6targetE0EEEvT1_
	.globl	_ZN7rocprim17ROCPRIM_400000_NS6detail17trampoline_kernelINS0_14default_configENS1_20scan_config_selectorIiEEZZNS1_9scan_implILNS1_25lookback_scan_determinismE0ELb0ELb0ES3_N6thrust23THRUST_200600_302600_NS6detail15normal_iteratorINS9_10device_ptrIiEEEESE_iNS9_4plusIvEEiEEDaPvRmT3_T4_T5_mT6_P12ihipStream_tbENKUlT_T0_E_clISt17integral_constantIbLb0EESU_EEDaSP_SQ_EUlSP_E_NS1_11comp_targetILNS1_3genE10ELNS1_11target_archE1200ELNS1_3gpuE4ELNS1_3repE0EEENS1_30default_config_static_selectorELNS0_4arch9wavefront6targetE0EEEvT1_
	.p2align	8
	.type	_ZN7rocprim17ROCPRIM_400000_NS6detail17trampoline_kernelINS0_14default_configENS1_20scan_config_selectorIiEEZZNS1_9scan_implILNS1_25lookback_scan_determinismE0ELb0ELb0ES3_N6thrust23THRUST_200600_302600_NS6detail15normal_iteratorINS9_10device_ptrIiEEEESE_iNS9_4plusIvEEiEEDaPvRmT3_T4_T5_mT6_P12ihipStream_tbENKUlT_T0_E_clISt17integral_constantIbLb0EESU_EEDaSP_SQ_EUlSP_E_NS1_11comp_targetILNS1_3genE10ELNS1_11target_archE1200ELNS1_3gpuE4ELNS1_3repE0EEENS1_30default_config_static_selectorELNS0_4arch9wavefront6targetE0EEEvT1_,@function
_ZN7rocprim17ROCPRIM_400000_NS6detail17trampoline_kernelINS0_14default_configENS1_20scan_config_selectorIiEEZZNS1_9scan_implILNS1_25lookback_scan_determinismE0ELb0ELb0ES3_N6thrust23THRUST_200600_302600_NS6detail15normal_iteratorINS9_10device_ptrIiEEEESE_iNS9_4plusIvEEiEEDaPvRmT3_T4_T5_mT6_P12ihipStream_tbENKUlT_T0_E_clISt17integral_constantIbLb0EESU_EEDaSP_SQ_EUlSP_E_NS1_11comp_targetILNS1_3genE10ELNS1_11target_archE1200ELNS1_3gpuE4ELNS1_3repE0EEENS1_30default_config_static_selectorELNS0_4arch9wavefront6targetE0EEEvT1_: ; @_ZN7rocprim17ROCPRIM_400000_NS6detail17trampoline_kernelINS0_14default_configENS1_20scan_config_selectorIiEEZZNS1_9scan_implILNS1_25lookback_scan_determinismE0ELb0ELb0ES3_N6thrust23THRUST_200600_302600_NS6detail15normal_iteratorINS9_10device_ptrIiEEEESE_iNS9_4plusIvEEiEEDaPvRmT3_T4_T5_mT6_P12ihipStream_tbENKUlT_T0_E_clISt17integral_constantIbLb0EESU_EEDaSP_SQ_EUlSP_E_NS1_11comp_targetILNS1_3genE10ELNS1_11target_archE1200ELNS1_3gpuE4ELNS1_3repE0EEENS1_30default_config_static_selectorELNS0_4arch9wavefront6targetE0EEEvT1_
; %bb.0:
	.section	.rodata,"a",@progbits
	.p2align	6, 0x0
	.amdhsa_kernel _ZN7rocprim17ROCPRIM_400000_NS6detail17trampoline_kernelINS0_14default_configENS1_20scan_config_selectorIiEEZZNS1_9scan_implILNS1_25lookback_scan_determinismE0ELb0ELb0ES3_N6thrust23THRUST_200600_302600_NS6detail15normal_iteratorINS9_10device_ptrIiEEEESE_iNS9_4plusIvEEiEEDaPvRmT3_T4_T5_mT6_P12ihipStream_tbENKUlT_T0_E_clISt17integral_constantIbLb0EESU_EEDaSP_SQ_EUlSP_E_NS1_11comp_targetILNS1_3genE10ELNS1_11target_archE1200ELNS1_3gpuE4ELNS1_3repE0EEENS1_30default_config_static_selectorELNS0_4arch9wavefront6targetE0EEEvT1_
		.amdhsa_group_segment_fixed_size 0
		.amdhsa_private_segment_fixed_size 0
		.amdhsa_kernarg_size 96
		.amdhsa_user_sgpr_count 15
		.amdhsa_user_sgpr_dispatch_ptr 0
		.amdhsa_user_sgpr_queue_ptr 0
		.amdhsa_user_sgpr_kernarg_segment_ptr 1
		.amdhsa_user_sgpr_dispatch_id 0
		.amdhsa_user_sgpr_private_segment_size 0
		.amdhsa_wavefront_size32 1
		.amdhsa_uses_dynamic_stack 0
		.amdhsa_enable_private_segment 0
		.amdhsa_system_sgpr_workgroup_id_x 1
		.amdhsa_system_sgpr_workgroup_id_y 0
		.amdhsa_system_sgpr_workgroup_id_z 0
		.amdhsa_system_sgpr_workgroup_info 0
		.amdhsa_system_vgpr_workitem_id 0
		.amdhsa_next_free_vgpr 1
		.amdhsa_next_free_sgpr 1
		.amdhsa_reserve_vcc 0
		.amdhsa_float_round_mode_32 0
		.amdhsa_float_round_mode_16_64 0
		.amdhsa_float_denorm_mode_32 3
		.amdhsa_float_denorm_mode_16_64 3
		.amdhsa_dx10_clamp 1
		.amdhsa_ieee_mode 1
		.amdhsa_fp16_overflow 0
		.amdhsa_workgroup_processor_mode 1
		.amdhsa_memory_ordered 1
		.amdhsa_forward_progress 0
		.amdhsa_shared_vgpr_count 0
		.amdhsa_exception_fp_ieee_invalid_op 0
		.amdhsa_exception_fp_denorm_src 0
		.amdhsa_exception_fp_ieee_div_zero 0
		.amdhsa_exception_fp_ieee_overflow 0
		.amdhsa_exception_fp_ieee_underflow 0
		.amdhsa_exception_fp_ieee_inexact 0
		.amdhsa_exception_int_div_zero 0
	.end_amdhsa_kernel
	.section	.text._ZN7rocprim17ROCPRIM_400000_NS6detail17trampoline_kernelINS0_14default_configENS1_20scan_config_selectorIiEEZZNS1_9scan_implILNS1_25lookback_scan_determinismE0ELb0ELb0ES3_N6thrust23THRUST_200600_302600_NS6detail15normal_iteratorINS9_10device_ptrIiEEEESE_iNS9_4plusIvEEiEEDaPvRmT3_T4_T5_mT6_P12ihipStream_tbENKUlT_T0_E_clISt17integral_constantIbLb0EESU_EEDaSP_SQ_EUlSP_E_NS1_11comp_targetILNS1_3genE10ELNS1_11target_archE1200ELNS1_3gpuE4ELNS1_3repE0EEENS1_30default_config_static_selectorELNS0_4arch9wavefront6targetE0EEEvT1_,"axG",@progbits,_ZN7rocprim17ROCPRIM_400000_NS6detail17trampoline_kernelINS0_14default_configENS1_20scan_config_selectorIiEEZZNS1_9scan_implILNS1_25lookback_scan_determinismE0ELb0ELb0ES3_N6thrust23THRUST_200600_302600_NS6detail15normal_iteratorINS9_10device_ptrIiEEEESE_iNS9_4plusIvEEiEEDaPvRmT3_T4_T5_mT6_P12ihipStream_tbENKUlT_T0_E_clISt17integral_constantIbLb0EESU_EEDaSP_SQ_EUlSP_E_NS1_11comp_targetILNS1_3genE10ELNS1_11target_archE1200ELNS1_3gpuE4ELNS1_3repE0EEENS1_30default_config_static_selectorELNS0_4arch9wavefront6targetE0EEEvT1_,comdat
.Lfunc_end9:
	.size	_ZN7rocprim17ROCPRIM_400000_NS6detail17trampoline_kernelINS0_14default_configENS1_20scan_config_selectorIiEEZZNS1_9scan_implILNS1_25lookback_scan_determinismE0ELb0ELb0ES3_N6thrust23THRUST_200600_302600_NS6detail15normal_iteratorINS9_10device_ptrIiEEEESE_iNS9_4plusIvEEiEEDaPvRmT3_T4_T5_mT6_P12ihipStream_tbENKUlT_T0_E_clISt17integral_constantIbLb0EESU_EEDaSP_SQ_EUlSP_E_NS1_11comp_targetILNS1_3genE10ELNS1_11target_archE1200ELNS1_3gpuE4ELNS1_3repE0EEENS1_30default_config_static_selectorELNS0_4arch9wavefront6targetE0EEEvT1_, .Lfunc_end9-_ZN7rocprim17ROCPRIM_400000_NS6detail17trampoline_kernelINS0_14default_configENS1_20scan_config_selectorIiEEZZNS1_9scan_implILNS1_25lookback_scan_determinismE0ELb0ELb0ES3_N6thrust23THRUST_200600_302600_NS6detail15normal_iteratorINS9_10device_ptrIiEEEESE_iNS9_4plusIvEEiEEDaPvRmT3_T4_T5_mT6_P12ihipStream_tbENKUlT_T0_E_clISt17integral_constantIbLb0EESU_EEDaSP_SQ_EUlSP_E_NS1_11comp_targetILNS1_3genE10ELNS1_11target_archE1200ELNS1_3gpuE4ELNS1_3repE0EEENS1_30default_config_static_selectorELNS0_4arch9wavefront6targetE0EEEvT1_
                                        ; -- End function
	.section	.AMDGPU.csdata,"",@progbits
; Kernel info:
; codeLenInByte = 0
; NumSgprs: 0
; NumVgprs: 0
; ScratchSize: 0
; MemoryBound: 0
; FloatMode: 240
; IeeeMode: 1
; LDSByteSize: 0 bytes/workgroup (compile time only)
; SGPRBlocks: 0
; VGPRBlocks: 0
; NumSGPRsForWavesPerEU: 1
; NumVGPRsForWavesPerEU: 1
; Occupancy: 16
; WaveLimiterHint : 0
; COMPUTE_PGM_RSRC2:SCRATCH_EN: 0
; COMPUTE_PGM_RSRC2:USER_SGPR: 15
; COMPUTE_PGM_RSRC2:TRAP_HANDLER: 0
; COMPUTE_PGM_RSRC2:TGID_X_EN: 1
; COMPUTE_PGM_RSRC2:TGID_Y_EN: 0
; COMPUTE_PGM_RSRC2:TGID_Z_EN: 0
; COMPUTE_PGM_RSRC2:TIDIG_COMP_CNT: 0
	.section	.text._ZN7rocprim17ROCPRIM_400000_NS6detail17trampoline_kernelINS0_14default_configENS1_20scan_config_selectorIiEEZZNS1_9scan_implILNS1_25lookback_scan_determinismE0ELb0ELb0ES3_N6thrust23THRUST_200600_302600_NS6detail15normal_iteratorINS9_10device_ptrIiEEEESE_iNS9_4plusIvEEiEEDaPvRmT3_T4_T5_mT6_P12ihipStream_tbENKUlT_T0_E_clISt17integral_constantIbLb0EESU_EEDaSP_SQ_EUlSP_E_NS1_11comp_targetILNS1_3genE9ELNS1_11target_archE1100ELNS1_3gpuE3ELNS1_3repE0EEENS1_30default_config_static_selectorELNS0_4arch9wavefront6targetE0EEEvT1_,"axG",@progbits,_ZN7rocprim17ROCPRIM_400000_NS6detail17trampoline_kernelINS0_14default_configENS1_20scan_config_selectorIiEEZZNS1_9scan_implILNS1_25lookback_scan_determinismE0ELb0ELb0ES3_N6thrust23THRUST_200600_302600_NS6detail15normal_iteratorINS9_10device_ptrIiEEEESE_iNS9_4plusIvEEiEEDaPvRmT3_T4_T5_mT6_P12ihipStream_tbENKUlT_T0_E_clISt17integral_constantIbLb0EESU_EEDaSP_SQ_EUlSP_E_NS1_11comp_targetILNS1_3genE9ELNS1_11target_archE1100ELNS1_3gpuE3ELNS1_3repE0EEENS1_30default_config_static_selectorELNS0_4arch9wavefront6targetE0EEEvT1_,comdat
	.protected	_ZN7rocprim17ROCPRIM_400000_NS6detail17trampoline_kernelINS0_14default_configENS1_20scan_config_selectorIiEEZZNS1_9scan_implILNS1_25lookback_scan_determinismE0ELb0ELb0ES3_N6thrust23THRUST_200600_302600_NS6detail15normal_iteratorINS9_10device_ptrIiEEEESE_iNS9_4plusIvEEiEEDaPvRmT3_T4_T5_mT6_P12ihipStream_tbENKUlT_T0_E_clISt17integral_constantIbLb0EESU_EEDaSP_SQ_EUlSP_E_NS1_11comp_targetILNS1_3genE9ELNS1_11target_archE1100ELNS1_3gpuE3ELNS1_3repE0EEENS1_30default_config_static_selectorELNS0_4arch9wavefront6targetE0EEEvT1_ ; -- Begin function _ZN7rocprim17ROCPRIM_400000_NS6detail17trampoline_kernelINS0_14default_configENS1_20scan_config_selectorIiEEZZNS1_9scan_implILNS1_25lookback_scan_determinismE0ELb0ELb0ES3_N6thrust23THRUST_200600_302600_NS6detail15normal_iteratorINS9_10device_ptrIiEEEESE_iNS9_4plusIvEEiEEDaPvRmT3_T4_T5_mT6_P12ihipStream_tbENKUlT_T0_E_clISt17integral_constantIbLb0EESU_EEDaSP_SQ_EUlSP_E_NS1_11comp_targetILNS1_3genE9ELNS1_11target_archE1100ELNS1_3gpuE3ELNS1_3repE0EEENS1_30default_config_static_selectorELNS0_4arch9wavefront6targetE0EEEvT1_
	.globl	_ZN7rocprim17ROCPRIM_400000_NS6detail17trampoline_kernelINS0_14default_configENS1_20scan_config_selectorIiEEZZNS1_9scan_implILNS1_25lookback_scan_determinismE0ELb0ELb0ES3_N6thrust23THRUST_200600_302600_NS6detail15normal_iteratorINS9_10device_ptrIiEEEESE_iNS9_4plusIvEEiEEDaPvRmT3_T4_T5_mT6_P12ihipStream_tbENKUlT_T0_E_clISt17integral_constantIbLb0EESU_EEDaSP_SQ_EUlSP_E_NS1_11comp_targetILNS1_3genE9ELNS1_11target_archE1100ELNS1_3gpuE3ELNS1_3repE0EEENS1_30default_config_static_selectorELNS0_4arch9wavefront6targetE0EEEvT1_
	.p2align	8
	.type	_ZN7rocprim17ROCPRIM_400000_NS6detail17trampoline_kernelINS0_14default_configENS1_20scan_config_selectorIiEEZZNS1_9scan_implILNS1_25lookback_scan_determinismE0ELb0ELb0ES3_N6thrust23THRUST_200600_302600_NS6detail15normal_iteratorINS9_10device_ptrIiEEEESE_iNS9_4plusIvEEiEEDaPvRmT3_T4_T5_mT6_P12ihipStream_tbENKUlT_T0_E_clISt17integral_constantIbLb0EESU_EEDaSP_SQ_EUlSP_E_NS1_11comp_targetILNS1_3genE9ELNS1_11target_archE1100ELNS1_3gpuE3ELNS1_3repE0EEENS1_30default_config_static_selectorELNS0_4arch9wavefront6targetE0EEEvT1_,@function
_ZN7rocprim17ROCPRIM_400000_NS6detail17trampoline_kernelINS0_14default_configENS1_20scan_config_selectorIiEEZZNS1_9scan_implILNS1_25lookback_scan_determinismE0ELb0ELb0ES3_N6thrust23THRUST_200600_302600_NS6detail15normal_iteratorINS9_10device_ptrIiEEEESE_iNS9_4plusIvEEiEEDaPvRmT3_T4_T5_mT6_P12ihipStream_tbENKUlT_T0_E_clISt17integral_constantIbLb0EESU_EEDaSP_SQ_EUlSP_E_NS1_11comp_targetILNS1_3genE9ELNS1_11target_archE1100ELNS1_3gpuE3ELNS1_3repE0EEENS1_30default_config_static_selectorELNS0_4arch9wavefront6targetE0EEEvT1_: ; @_ZN7rocprim17ROCPRIM_400000_NS6detail17trampoline_kernelINS0_14default_configENS1_20scan_config_selectorIiEEZZNS1_9scan_implILNS1_25lookback_scan_determinismE0ELb0ELb0ES3_N6thrust23THRUST_200600_302600_NS6detail15normal_iteratorINS9_10device_ptrIiEEEESE_iNS9_4plusIvEEiEEDaPvRmT3_T4_T5_mT6_P12ihipStream_tbENKUlT_T0_E_clISt17integral_constantIbLb0EESU_EEDaSP_SQ_EUlSP_E_NS1_11comp_targetILNS1_3genE9ELNS1_11target_archE1100ELNS1_3gpuE3ELNS1_3repE0EEENS1_30default_config_static_selectorELNS0_4arch9wavefront6targetE0EEEvT1_
; %bb.0:
	s_clause 0x1
	s_load_b256 s[4:11], s[0:1], 0x0
	s_load_b32 s2, s[0:1], 0x30
	s_mov_b32 s3, 0
	v_lshlrev_b32_e32 v15, 2, v0
	v_lshrrev_b32_e32 v16, 3, v0
	v_or_b32_e32 v14, 0x100, v0
	v_or_b32_e32 v13, 0x200, v0
	;; [unrolled: 1-line block ×3, first 2 shown]
	s_waitcnt lgkmcnt(0)
	s_lshl_b64 s[6:7], s[6:7], 2
	s_delay_alu instid0(SALU_CYCLE_1) | instskip(SKIP_4) | instid1(SALU_CYCLE_1)
	s_add_u32 s12, s4, s6
	s_addc_u32 s13, s5, s7
	s_add_i32 s4, s2, -1
	s_lshl_b32 s2, s15, 10
	s_lshl_b32 s5, s4, 10
	s_sub_u32 s20, s10, s5
	s_subb_u32 s21, s11, 0
	s_cmp_lg_u32 s15, s4
	s_cselect_b32 s22, -1, 0
	s_lshl_b64 s[4:5], s[2:3], 2
	s_mov_b32 s3, -1
	s_add_u32 s12, s12, s4
	s_addc_u32 s13, s13, s5
	s_and_b32 vcc_lo, exec_lo, s22
	s_cbranch_vccz .LBB10_2
; %bb.1:
	v_add_co_u32 v1, s2, s12, v15
	s_delay_alu instid0(VALU_DEP_1)
	v_add_co_ci_u32_e64 v2, null, s13, 0, s2
	v_lshrrev_b32_e32 v6, 3, v13
	v_lshrrev_b32_e32 v7, 3, v12
	v_and_b32_e32 v8, 28, v16
	s_clause 0x3
	flat_load_b32 v3, v[1:2]
	flat_load_b32 v4, v[1:2] offset:1024
	flat_load_b32 v5, v[1:2] offset:2048
	;; [unrolled: 1-line block ×3, first 2 shown]
	v_lshrrev_b32_e32 v2, 3, v14
	v_and_b32_e32 v6, 0x5c, v6
	v_and_b32_e32 v7, 0x7c, v7
	v_add_nc_u32_e32 v8, v8, v15
	s_mov_b32 s3, 0
	v_and_b32_e32 v2, 60, v2
	v_add_nc_u32_e32 v6, v6, v15
	v_add_nc_u32_e32 v7, v7, v15
	s_delay_alu instid0(VALU_DEP_3)
	v_add_nc_u32_e32 v2, v2, v15
	s_waitcnt vmcnt(3) lgkmcnt(3)
	ds_store_b32 v8, v3
	s_waitcnt vmcnt(2) lgkmcnt(3)
	ds_store_b32 v2, v4 offset:1024
	s_waitcnt vmcnt(1) lgkmcnt(3)
	ds_store_b32 v6, v5 offset:2048
	s_waitcnt vmcnt(0) lgkmcnt(3)
	ds_store_b32 v7, v1 offset:3072
	s_waitcnt lgkmcnt(0)
	s_barrier
.LBB10_2:
	s_load_b64 s[10:11], s[0:1], 0x28
	v_cmp_gt_u32_e64 s2, s20, v0
	s_and_not1_b32 vcc_lo, exec_lo, s3
	s_cbranch_vccnz .LBB10_9
; %bb.3:
	v_dual_mov_b32 v1, s12 :: v_dual_mov_b32 v2, s13
	flat_load_b32 v1, v[1:2]
	s_waitcnt vmcnt(0) lgkmcnt(0)
	v_mov_b32_e32 v3, v1
	v_mov_b32_e32 v2, v1
	;; [unrolled: 1-line block ×3, first 2 shown]
	s_and_saveexec_b32 s3, s2
	s_cbranch_execnz .LBB10_55
; %bb.4:
	s_or_b32 exec_lo, exec_lo, s3
	s_delay_alu instid0(SALU_CYCLE_1)
	s_mov_b32 s2, exec_lo
	v_cmpx_gt_u32_e64 s20, v14
	s_cbranch_execnz .LBB10_56
.LBB10_5:
	s_or_b32 exec_lo, exec_lo, s2
	s_delay_alu instid0(SALU_CYCLE_1)
	s_mov_b32 s2, exec_lo
	v_cmpx_gt_u32_e64 s20, v13
	s_cbranch_execnz .LBB10_57
.LBB10_6:
	s_or_b32 exec_lo, exec_lo, s2
	s_delay_alu instid0(SALU_CYCLE_1)
	s_mov_b32 s2, exec_lo
	v_cmpx_gt_u32_e64 s20, v12
	s_cbranch_execz .LBB10_8
.LBB10_7:
	v_add_co_u32 v5, s3, s12, v15
	s_delay_alu instid0(VALU_DEP_1)
	v_add_co_ci_u32_e64 v6, null, s13, 0, s3
	flat_load_b32 v2, v[5:6] offset:3072
.LBB10_8:
	s_or_b32 exec_lo, exec_lo, s2
	v_lshrrev_b32_e32 v5, 3, v14
	v_lshrrev_b32_e32 v6, 3, v13
	;; [unrolled: 1-line block ×3, first 2 shown]
	v_and_b32_e32 v8, 28, v16
	s_delay_alu instid0(VALU_DEP_4) | instskip(NEXT) | instid1(VALU_DEP_4)
	v_and_b32_e32 v5, 60, v5
	v_and_b32_e32 v6, 0x7c, v6
	s_delay_alu instid0(VALU_DEP_4) | instskip(NEXT) | instid1(VALU_DEP_4)
	v_and_b32_e32 v7, 0x7c, v7
	v_add_nc_u32_e32 v8, v8, v15
	s_delay_alu instid0(VALU_DEP_4) | instskip(NEXT) | instid1(VALU_DEP_4)
	v_add_nc_u32_e32 v5, v5, v15
	v_add_nc_u32_e32 v6, v6, v15
	s_delay_alu instid0(VALU_DEP_4)
	v_add_nc_u32_e32 v7, v7, v15
	s_waitcnt vmcnt(0) lgkmcnt(0)
	ds_store_b32 v8, v4
	ds_store_b32 v5, v1 offset:1024
	ds_store_b32 v6, v3 offset:2048
	;; [unrolled: 1-line block ×3, first 2 shown]
	s_waitcnt lgkmcnt(0)
	s_barrier
.LBB10_9:
	v_add_lshl_u32 v3, v16, v15, 2
	s_waitcnt lgkmcnt(0)
	buffer_gl0_inv
	v_lshrrev_b32_e32 v17, 5, v0
	v_cmp_gt_u32_e32 vcc_lo, 32, v0
	s_cmp_lg_u32 s15, 0
	ds_load_2addr_b32 v[1:2], v3 offset1:1
	ds_load_2addr_b32 v[3:4], v3 offset0:2 offset1:3
	s_waitcnt lgkmcnt(0)
	s_barrier
	buffer_gl0_inv
	s_cbranch_scc0 .LBB10_34
; %bb.10:
	v_add_nc_u32_e32 v5, v2, v1
	v_add_lshl_u32 v6, v17, v0, 2
	s_delay_alu instid0(VALU_DEP_2)
	v_add3_u32 v5, v5, v3, v4
	ds_store_b32 v6, v5
	s_waitcnt lgkmcnt(0)
	s_barrier
	buffer_gl0_inv
	s_and_saveexec_b32 s3, vcc_lo
	s_cbranch_execz .LBB10_12
; %bb.11:
	v_and_b32_e32 v6, 0xfc, v0
	s_delay_alu instid0(VALU_DEP_1)
	v_lshl_or_b32 v20, v0, 5, v6
	ds_load_2addr_b32 v[6:7], v20 offset1:1
	ds_load_2addr_b32 v[8:9], v20 offset0:2 offset1:3
	ds_load_2addr_b32 v[10:11], v20 offset0:4 offset1:5
	;; [unrolled: 1-line block ×3, first 2 shown]
	; wave barrier
	s_waitcnt lgkmcnt(3)
	v_add_nc_u32_e32 v7, v7, v6
	s_waitcnt lgkmcnt(2)
	s_delay_alu instid0(VALU_DEP_1) | instskip(SKIP_2) | instid1(VALU_DEP_2)
	v_add3_u32 v7, v7, v8, v9
	v_mbcnt_lo_u32_b32 v8, -1, 0
	s_waitcnt lgkmcnt(1)
	v_add3_u32 v7, v7, v10, v11
	s_delay_alu instid0(VALU_DEP_2) | instskip(SKIP_2) | instid1(VALU_DEP_3)
	v_and_b32_e32 v9, 15, v8
	v_bfe_i32 v11, v8, 4, 1
	s_waitcnt lgkmcnt(0)
	v_add3_u32 v7, v7, v18, v19
	s_delay_alu instid0(VALU_DEP_3) | instskip(NEXT) | instid1(VALU_DEP_2)
	v_cmp_ne_u32_e64 s2, 0, v9
	v_mov_b32_dpp v10, v7 row_shr:1 row_mask:0xf bank_mask:0xf
	s_delay_alu instid0(VALU_DEP_1) | instskip(SKIP_1) | instid1(VALU_DEP_2)
	v_cndmask_b32_e64 v10, 0, v10, s2
	v_cmp_lt_u32_e64 s2, 1, v9
	v_add_nc_u32_e32 v7, v10, v7
	s_delay_alu instid0(VALU_DEP_1) | instskip(NEXT) | instid1(VALU_DEP_1)
	v_mov_b32_dpp v10, v7 row_shr:2 row_mask:0xf bank_mask:0xf
	v_cndmask_b32_e64 v10, 0, v10, s2
	v_cmp_lt_u32_e64 s2, 3, v9
	s_delay_alu instid0(VALU_DEP_2) | instskip(NEXT) | instid1(VALU_DEP_1)
	v_add_nc_u32_e32 v7, v7, v10
	v_mov_b32_dpp v10, v7 row_shr:4 row_mask:0xf bank_mask:0xf
	s_delay_alu instid0(VALU_DEP_1) | instskip(SKIP_1) | instid1(VALU_DEP_2)
	v_cndmask_b32_e64 v10, 0, v10, s2
	v_cmp_lt_u32_e64 s2, 7, v9
	v_add_nc_u32_e32 v7, v7, v10
	s_delay_alu instid0(VALU_DEP_1) | instskip(NEXT) | instid1(VALU_DEP_1)
	v_mov_b32_dpp v10, v7 row_shr:8 row_mask:0xf bank_mask:0xf
	v_cndmask_b32_e64 v9, 0, v10, s2
	v_add_nc_u32_e32 v10, -1, v8
	s_delay_alu instid0(VALU_DEP_2) | instskip(NEXT) | instid1(VALU_DEP_2)
	v_add_nc_u32_e32 v7, v7, v9
	v_cmp_gt_i32_e64 s2, 0, v10
	ds_swizzle_b32 v9, v7 offset:swizzle(BROADCAST,32,15)
	v_cndmask_b32_e64 v8, v10, v8, s2
	v_cmp_eq_u32_e64 s2, 0, v0
	s_delay_alu instid0(VALU_DEP_2) | instskip(SKIP_2) | instid1(VALU_DEP_1)
	v_lshlrev_b32_e32 v8, 2, v8
	s_waitcnt lgkmcnt(0)
	v_and_b32_e32 v9, v11, v9
	v_add_nc_u32_e32 v7, v7, v9
	ds_bpermute_b32 v7, v8, v7
	s_waitcnt lgkmcnt(0)
	v_add_nc_u32_e32 v6, v7, v6
	s_delay_alu instid0(VALU_DEP_1)
	v_cndmask_b32_e64 v11, v6, v5, s2
	ds_store_b32 v20, v11
	; wave barrier
	ds_load_2addr_b32 v[5:6], v20 offset0:1 offset1:2
	ds_load_2addr_b32 v[7:8], v20 offset0:3 offset1:4
	;; [unrolled: 1-line block ×3, first 2 shown]
	ds_load_b32 v18, v20 offset:28
	s_waitcnt lgkmcnt(3)
	v_add_nc_u32_e32 v5, v5, v11
	s_delay_alu instid0(VALU_DEP_1) | instskip(SKIP_1) | instid1(VALU_DEP_1)
	v_add_nc_u32_e32 v6, v6, v5
	s_waitcnt lgkmcnt(2)
	v_add_nc_u32_e32 v7, v7, v6
	s_delay_alu instid0(VALU_DEP_1) | instskip(SKIP_1) | instid1(VALU_DEP_1)
	v_add_nc_u32_e32 v8, v8, v7
	;; [unrolled: 4-line block ×3, first 2 shown]
	s_waitcnt lgkmcnt(0)
	v_add_nc_u32_e32 v11, v18, v10
	ds_store_2addr_b32 v20, v5, v6 offset0:1 offset1:2
	ds_store_2addr_b32 v20, v7, v8 offset0:3 offset1:4
	;; [unrolled: 1-line block ×3, first 2 shown]
	ds_store_b32 v20, v11 offset:28
.LBB10_12:
	s_or_b32 exec_lo, exec_lo, s3
	v_cmp_eq_u32_e64 s2, 0, v0
	v_mov_b32_e32 v18, 0
	s_mov_b32 s12, exec_lo
	s_waitcnt lgkmcnt(0)
	s_barrier
	buffer_gl0_inv
	v_cmpx_ne_u32_e32 0, v0
	s_cbranch_execz .LBB10_14
; %bb.13:
	v_add_nc_u32_e32 v5, -1, v0
	s_delay_alu instid0(VALU_DEP_1) | instskip(NEXT) | instid1(VALU_DEP_1)
	v_lshrrev_b32_e32 v6, 5, v5
	v_add_lshl_u32 v5, v6, v5, 2
	ds_load_b32 v18, v5
.LBB10_14:
	s_or_b32 exec_lo, exec_lo, s12
	s_and_saveexec_b32 s14, vcc_lo
	s_cbranch_execz .LBB10_33
; %bb.15:
	v_mov_b32_e32 v8, 0
	v_mbcnt_lo_u32_b32 v19, -1, 0
	s_mov_b32 s13, 0
	ds_load_b32 v5, v8 offset:1048
	v_cmp_eq_u32_e64 s3, 0, v19
	s_delay_alu instid0(VALU_DEP_1)
	s_and_saveexec_b32 s16, s3
	s_cbranch_execz .LBB10_17
; %bb.16:
	s_add_i32 s12, s15, 32
	v_mov_b32_e32 v6, 1
	s_lshl_b64 s[12:13], s[12:13], 3
	s_delay_alu instid0(SALU_CYCLE_1)
	s_add_u32 s12, s10, s12
	s_addc_u32 s13, s11, s13
	s_waitcnt lgkmcnt(0)
	global_store_b64 v8, v[5:6], s[12:13]
.LBB10_17:
	s_or_b32 exec_lo, exec_lo, s16
	v_xad_u32 v6, v19, -1, s15
	s_mov_b32 s12, exec_lo
	s_delay_alu instid0(VALU_DEP_1) | instskip(NEXT) | instid1(VALU_DEP_1)
	v_add_nc_u32_e32 v7, 32, v6
	v_lshlrev_b64 v[7:8], 3, v[7:8]
	s_delay_alu instid0(VALU_DEP_1) | instskip(NEXT) | instid1(VALU_DEP_2)
	v_add_co_u32 v10, vcc_lo, s10, v7
	v_add_co_ci_u32_e32 v11, vcc_lo, s11, v8, vcc_lo
	global_load_b64 v[8:9], v[10:11], off glc
	s_waitcnt vmcnt(0)
	v_and_b32_e32 v7, 0xff, v9
	s_delay_alu instid0(VALU_DEP_1)
	v_cmpx_eq_u16_e32 0, v7
	s_cbranch_execz .LBB10_21
; %bb.18:
	s_mov_b32 s13, 0
.LBB10_19:                              ; =>This Inner Loop Header: Depth=1
	global_load_b64 v[8:9], v[10:11], off glc
	s_waitcnt vmcnt(0)
	v_and_b32_e32 v7, 0xff, v9
	s_delay_alu instid0(VALU_DEP_1) | instskip(SKIP_1) | instid1(SALU_CYCLE_1)
	v_cmp_ne_u16_e32 vcc_lo, 0, v7
	s_or_b32 s13, vcc_lo, s13
	s_and_not1_b32 exec_lo, exec_lo, s13
	s_cbranch_execnz .LBB10_19
; %bb.20:
	s_or_b32 exec_lo, exec_lo, s13
.LBB10_21:
	s_delay_alu instid0(SALU_CYCLE_1)
	s_or_b32 exec_lo, exec_lo, s12
	v_cmp_ne_u32_e32 vcc_lo, 31, v19
	v_lshlrev_b32_e64 v21, v19, -1
	v_add_nc_u32_e32 v23, 2, v19
	v_add_nc_u32_e32 v25, 4, v19
	;; [unrolled: 1-line block ×3, first 2 shown]
	v_add_co_ci_u32_e32 v7, vcc_lo, 0, v19, vcc_lo
	v_add_nc_u32_e32 v30, 16, v19
	s_delay_alu instid0(VALU_DEP_2) | instskip(SKIP_2) | instid1(VALU_DEP_1)
	v_lshlrev_b32_e32 v20, 2, v7
	ds_bpermute_b32 v10, v20, v8
	v_and_b32_e32 v7, 0xff, v9
	v_cmp_eq_u16_e32 vcc_lo, 2, v7
	v_and_or_b32 v7, vcc_lo, v21, 0x80000000
	v_cmp_gt_u32_e32 vcc_lo, 30, v19
	s_delay_alu instid0(VALU_DEP_2) | instskip(SKIP_1) | instid1(VALU_DEP_2)
	v_ctz_i32_b32_e32 v7, v7
	v_cndmask_b32_e64 v11, 0, 1, vcc_lo
	v_cmp_lt_u32_e32 vcc_lo, v19, v7
	s_waitcnt lgkmcnt(0)
	s_delay_alu instid0(VALU_DEP_2) | instskip(NEXT) | instid1(VALU_DEP_1)
	v_dual_cndmask_b32 v10, 0, v10 :: v_dual_lshlrev_b32 v11, 1, v11
	v_add_lshl_u32 v22, v11, v19, 2
	v_cmp_gt_u32_e32 vcc_lo, 28, v19
	s_delay_alu instid0(VALU_DEP_3) | instskip(SKIP_4) | instid1(VALU_DEP_1)
	v_add_nc_u32_e32 v8, v10, v8
	v_cndmask_b32_e64 v11, 0, 1, vcc_lo
	v_cmp_le_u32_e32 vcc_lo, v23, v7
	ds_bpermute_b32 v10, v22, v8
	v_lshlrev_b32_e32 v11, 2, v11
	v_add_lshl_u32 v24, v11, v19, 2
	s_waitcnt lgkmcnt(0)
	v_cndmask_b32_e32 v10, 0, v10, vcc_lo
	v_cmp_gt_u32_e32 vcc_lo, 24, v19
	s_delay_alu instid0(VALU_DEP_2) | instskip(SKIP_4) | instid1(VALU_DEP_1)
	v_add_nc_u32_e32 v8, v8, v10
	v_cndmask_b32_e64 v11, 0, 1, vcc_lo
	v_cmp_le_u32_e32 vcc_lo, v25, v7
	ds_bpermute_b32 v10, v24, v8
	v_lshlrev_b32_e32 v11, 3, v11
	v_add_lshl_u32 v27, v11, v19, 2
	s_waitcnt lgkmcnt(0)
	v_cndmask_b32_e32 v10, 0, v10, vcc_lo
	v_cmp_gt_u32_e32 vcc_lo, 16, v19
	s_delay_alu instid0(VALU_DEP_2) | instskip(SKIP_4) | instid1(VALU_DEP_1)
	v_add_nc_u32_e32 v8, v8, v10
	v_cndmask_b32_e64 v11, 0, 1, vcc_lo
	v_cmp_le_u32_e32 vcc_lo, v28, v7
	ds_bpermute_b32 v10, v27, v8
	v_lshlrev_b32_e32 v11, 4, v11
	v_add_lshl_u32 v29, v11, v19, 2
	s_waitcnt lgkmcnt(0)
	v_cndmask_b32_e32 v10, 0, v10, vcc_lo
	v_cmp_le_u32_e32 vcc_lo, v30, v7
	s_delay_alu instid0(VALU_DEP_2) | instskip(SKIP_3) | instid1(VALU_DEP_1)
	v_add_nc_u32_e32 v8, v8, v10
	ds_bpermute_b32 v10, v29, v8
	s_waitcnt lgkmcnt(0)
	v_cndmask_b32_e32 v7, 0, v10, vcc_lo
	v_dual_mov_b32 v7, 0 :: v_dual_add_nc_u32 v8, v8, v7
	s_branch .LBB10_23
.LBB10_22:                              ;   in Loop: Header=BB10_23 Depth=1
	s_or_b32 exec_lo, exec_lo, s12
	ds_bpermute_b32 v11, v20, v8
	v_and_b32_e32 v10, 0xff, v9
	v_subrev_nc_u32_e32 v6, 32, v6
	s_delay_alu instid0(VALU_DEP_2) | instskip(SKIP_1) | instid1(VALU_DEP_1)
	v_cmp_eq_u16_e32 vcc_lo, 2, v10
	v_and_or_b32 v10, vcc_lo, v21, 0x80000000
	v_ctz_i32_b32_e32 v10, v10
	s_delay_alu instid0(VALU_DEP_1) | instskip(SKIP_3) | instid1(VALU_DEP_2)
	v_cmp_lt_u32_e32 vcc_lo, v19, v10
	s_waitcnt lgkmcnt(0)
	v_cndmask_b32_e32 v11, 0, v11, vcc_lo
	v_cmp_le_u32_e32 vcc_lo, v23, v10
	v_add_nc_u32_e32 v8, v11, v8
	ds_bpermute_b32 v11, v22, v8
	s_waitcnt lgkmcnt(0)
	v_cndmask_b32_e32 v11, 0, v11, vcc_lo
	v_cmp_le_u32_e32 vcc_lo, v25, v10
	s_delay_alu instid0(VALU_DEP_2) | instskip(SKIP_4) | instid1(VALU_DEP_2)
	v_add_nc_u32_e32 v8, v8, v11
	ds_bpermute_b32 v11, v24, v8
	s_waitcnt lgkmcnt(0)
	v_cndmask_b32_e32 v11, 0, v11, vcc_lo
	v_cmp_le_u32_e32 vcc_lo, v28, v10
	v_add_nc_u32_e32 v8, v8, v11
	ds_bpermute_b32 v11, v27, v8
	s_waitcnt lgkmcnt(0)
	v_cndmask_b32_e32 v11, 0, v11, vcc_lo
	v_cmp_le_u32_e32 vcc_lo, v30, v10
	s_delay_alu instid0(VALU_DEP_2) | instskip(SKIP_3) | instid1(VALU_DEP_1)
	v_add_nc_u32_e32 v8, v8, v11
	ds_bpermute_b32 v11, v29, v8
	s_waitcnt lgkmcnt(0)
	v_cndmask_b32_e32 v10, 0, v11, vcc_lo
	v_add3_u32 v8, v10, v26, v8
.LBB10_23:                              ; =>This Loop Header: Depth=1
                                        ;     Child Loop BB10_26 Depth 2
	s_delay_alu instid0(VALU_DEP_1) | instskip(NEXT) | instid1(VALU_DEP_1)
	v_dual_mov_b32 v26, v8 :: v_dual_and_b32 v9, 0xff, v9
	v_cmp_ne_u16_e32 vcc_lo, 2, v9
	v_cndmask_b32_e64 v9, 0, 1, vcc_lo
	;;#ASMSTART
	;;#ASMEND
	s_delay_alu instid0(VALU_DEP_1)
	v_cmp_ne_u32_e32 vcc_lo, 0, v9
	s_cmp_lg_u32 vcc_lo, exec_lo
	s_cbranch_scc1 .LBB10_28
; %bb.24:                               ;   in Loop: Header=BB10_23 Depth=1
	v_lshlrev_b64 v[8:9], 3, v[6:7]
	s_mov_b32 s12, exec_lo
	s_delay_alu instid0(VALU_DEP_1) | instskip(NEXT) | instid1(VALU_DEP_2)
	v_add_co_u32 v10, vcc_lo, s10, v8
	v_add_co_ci_u32_e32 v11, vcc_lo, s11, v9, vcc_lo
	global_load_b64 v[8:9], v[10:11], off glc
	s_waitcnt vmcnt(0)
	v_and_b32_e32 v31, 0xff, v9
	s_delay_alu instid0(VALU_DEP_1)
	v_cmpx_eq_u16_e32 0, v31
	s_cbranch_execz .LBB10_22
; %bb.25:                               ;   in Loop: Header=BB10_23 Depth=1
	s_mov_b32 s13, 0
.LBB10_26:                              ;   Parent Loop BB10_23 Depth=1
                                        ; =>  This Inner Loop Header: Depth=2
	global_load_b64 v[8:9], v[10:11], off glc
	s_waitcnt vmcnt(0)
	v_and_b32_e32 v31, 0xff, v9
	s_delay_alu instid0(VALU_DEP_1) | instskip(SKIP_1) | instid1(SALU_CYCLE_1)
	v_cmp_ne_u16_e32 vcc_lo, 0, v31
	s_or_b32 s13, vcc_lo, s13
	s_and_not1_b32 exec_lo, exec_lo, s13
	s_cbranch_execnz .LBB10_26
; %bb.27:                               ;   in Loop: Header=BB10_23 Depth=1
	s_or_b32 exec_lo, exec_lo, s13
	s_branch .LBB10_22
.LBB10_28:                              ;   in Loop: Header=BB10_23 Depth=1
                                        ; implicit-def: $vgpr8
                                        ; implicit-def: $vgpr9
	s_cbranch_execz .LBB10_23
; %bb.29:
	s_and_saveexec_b32 s12, s3
	s_cbranch_execz .LBB10_31
; %bb.30:
	s_add_i32 s16, s15, 32
	s_mov_b32 s17, 0
	v_dual_mov_b32 v6, 2 :: v_dual_add_nc_u32 v5, v26, v5
	s_lshl_b64 s[16:17], s[16:17], 3
	v_mov_b32_e32 v7, 0
	s_add_u32 s16, s10, s16
	s_addc_u32 s17, s11, s17
	global_store_b64 v7, v[5:6], s[16:17]
.LBB10_31:
	s_or_b32 exec_lo, exec_lo, s12
	s_delay_alu instid0(SALU_CYCLE_1)
	s_and_b32 exec_lo, exec_lo, s2
	s_cbranch_execz .LBB10_33
; %bb.32:
	v_mov_b32_e32 v5, 0
	ds_store_b32 v5, v26
.LBB10_33:
	s_or_b32 exec_lo, exec_lo, s14
	v_mov_b32_e32 v5, 0
	s_waitcnt lgkmcnt(0)
	s_waitcnt_vscnt null, 0x0
	s_barrier
	buffer_gl0_inv
	ds_load_b32 v5, v5
	s_waitcnt lgkmcnt(0)
	v_add3_u32 v6, v18, v1, v5
	s_delay_alu instid0(VALU_DEP_1) | instskip(NEXT) | instid1(VALU_DEP_1)
	v_add_nc_u32_e32 v7, v6, v2
	v_add_nc_u32_e32 v8, v7, v3
	s_delay_alu instid0(VALU_DEP_1)
	v_add_nc_u32_e32 v5, v8, v4
	s_load_b256 s[12:19], s[0:1], 0x38
	s_branch .LBB10_46
.LBB10_34:
                                        ; implicit-def: $vgpr5
                                        ; implicit-def: $vgpr8
                                        ; implicit-def: $vgpr7
                                        ; implicit-def: $vgpr6
	s_load_b256 s[12:19], s[0:1], 0x38
	s_cbranch_execz .LBB10_46
; %bb.35:
	v_cmp_eq_u32_e64 s0, 0, v0
	s_waitcnt lgkmcnt(0)
	s_cmp_lg_u64 s[16:17], 0
	v_cmp_ne_u32_e32 vcc_lo, 0, v0
	s_cselect_b32 s1, -1, 0
	s_delay_alu instid0(SALU_CYCLE_1) | instskip(NEXT) | instid1(SALU_CYCLE_1)
	s_and_b32 s2, s0, s1
	s_and_saveexec_b32 s1, s2
	s_cbranch_execz .LBB10_37
; %bb.36:
	v_mov_b32_e32 v5, 0
	global_load_b32 v5, v5, s[12:13]
	s_waitcnt vmcnt(0)
	v_add_nc_u32_e32 v1, v5, v1
.LBB10_37:
	s_or_b32 exec_lo, exec_lo, s1
	s_delay_alu instid0(VALU_DEP_1) | instskip(SKIP_2) | instid1(VALU_DEP_2)
	v_add_nc_u32_e32 v7, v2, v1
	v_add_lshl_u32 v6, v17, v0, 2
	s_mov_b32 s2, exec_lo
	v_add_nc_u32_e32 v8, v7, v3
	s_delay_alu instid0(VALU_DEP_1)
	v_add_nc_u32_e32 v5, v8, v4
	ds_store_b32 v6, v5
	s_waitcnt lgkmcnt(0)
	s_barrier
	buffer_gl0_inv
	v_cmpx_gt_u32_e32 32, v0
	s_cbranch_execz .LBB10_39
; %bb.38:
	v_and_b32_e32 v6, 0xfc, v0
	v_mbcnt_lo_u32_b32 v11, -1, 0
	s_delay_alu instid0(VALU_DEP_2)
	v_lshl_or_b32 v6, v0, 5, v6
	ds_load_2addr_b32 v[9:10], v6 offset1:1
	ds_load_2addr_b32 v[18:19], v6 offset0:2 offset1:3
	ds_load_2addr_b32 v[20:21], v6 offset0:4 offset1:5
	ds_load_2addr_b32 v[22:23], v6 offset0:6 offset1:7
	; wave barrier
	s_waitcnt lgkmcnt(3)
	v_add_nc_u32_e32 v10, v10, v9
	s_waitcnt lgkmcnt(2)
	s_delay_alu instid0(VALU_DEP_1) | instskip(SKIP_2) | instid1(VALU_DEP_2)
	v_add3_u32 v10, v10, v18, v19
	v_and_b32_e32 v18, 15, v11
	s_waitcnt lgkmcnt(1)
	v_add3_u32 v10, v10, v20, v21
	s_delay_alu instid0(VALU_DEP_2) | instskip(SKIP_2) | instid1(VALU_DEP_3)
	v_cmp_ne_u32_e64 s1, 0, v18
	v_bfe_i32 v20, v11, 4, 1
	s_waitcnt lgkmcnt(0)
	v_add3_u32 v10, v10, v22, v23
	s_delay_alu instid0(VALU_DEP_1) | instskip(NEXT) | instid1(VALU_DEP_1)
	v_mov_b32_dpp v19, v10 row_shr:1 row_mask:0xf bank_mask:0xf
	v_cndmask_b32_e64 v19, 0, v19, s1
	v_cmp_lt_u32_e64 s1, 1, v18
	s_delay_alu instid0(VALU_DEP_2) | instskip(NEXT) | instid1(VALU_DEP_1)
	v_add_nc_u32_e32 v10, v19, v10
	v_mov_b32_dpp v19, v10 row_shr:2 row_mask:0xf bank_mask:0xf
	s_delay_alu instid0(VALU_DEP_1) | instskip(SKIP_1) | instid1(VALU_DEP_2)
	v_cndmask_b32_e64 v19, 0, v19, s1
	v_cmp_lt_u32_e64 s1, 3, v18
	v_add_nc_u32_e32 v10, v10, v19
	s_delay_alu instid0(VALU_DEP_1) | instskip(NEXT) | instid1(VALU_DEP_1)
	v_mov_b32_dpp v19, v10 row_shr:4 row_mask:0xf bank_mask:0xf
	v_cndmask_b32_e64 v19, 0, v19, s1
	v_cmp_lt_u32_e64 s1, 7, v18
	s_delay_alu instid0(VALU_DEP_2) | instskip(NEXT) | instid1(VALU_DEP_1)
	v_add_nc_u32_e32 v10, v10, v19
	v_mov_b32_dpp v19, v10 row_shr:8 row_mask:0xf bank_mask:0xf
	s_delay_alu instid0(VALU_DEP_1) | instskip(SKIP_1) | instid1(VALU_DEP_2)
	v_cndmask_b32_e64 v18, 0, v19, s1
	v_add_nc_u32_e32 v19, -1, v11
	v_add_nc_u32_e32 v10, v10, v18
	s_delay_alu instid0(VALU_DEP_2) | instskip(SKIP_2) | instid1(VALU_DEP_1)
	v_cmp_gt_i32_e64 s1, 0, v19
	ds_swizzle_b32 v18, v10 offset:swizzle(BROADCAST,32,15)
	v_cndmask_b32_e64 v11, v19, v11, s1
	v_lshlrev_b32_e32 v11, 2, v11
	s_waitcnt lgkmcnt(0)
	v_and_b32_e32 v18, v20, v18
	s_delay_alu instid0(VALU_DEP_1) | instskip(SKIP_3) | instid1(VALU_DEP_1)
	v_add_nc_u32_e32 v10, v10, v18
	ds_bpermute_b32 v10, v11, v10
	s_waitcnt lgkmcnt(0)
	v_add_nc_u32_e32 v9, v10, v9
	v_cndmask_b32_e64 v11, v9, v5, s0
	ds_store_b32 v6, v11
	; wave barrier
	ds_load_2addr_b32 v[9:10], v6 offset0:1 offset1:2
	ds_load_2addr_b32 v[18:19], v6 offset0:3 offset1:4
	;; [unrolled: 1-line block ×3, first 2 shown]
	ds_load_b32 v22, v6 offset:28
	s_waitcnt lgkmcnt(3)
	v_add_nc_u32_e32 v9, v9, v11
	s_delay_alu instid0(VALU_DEP_1) | instskip(SKIP_1) | instid1(VALU_DEP_1)
	v_add_nc_u32_e32 v10, v10, v9
	s_waitcnt lgkmcnt(2)
	v_add_nc_u32_e32 v11, v18, v10
	s_delay_alu instid0(VALU_DEP_1) | instskip(SKIP_1) | instid1(VALU_DEP_1)
	v_add_nc_u32_e32 v18, v19, v11
	;; [unrolled: 4-line block ×3, first 2 shown]
	s_waitcnt lgkmcnt(0)
	v_add_nc_u32_e32 v21, v22, v20
	ds_store_2addr_b32 v6, v9, v10 offset0:1 offset1:2
	ds_store_2addr_b32 v6, v11, v18 offset0:3 offset1:4
	ds_store_2addr_b32 v6, v19, v20 offset0:5 offset1:6
	ds_store_b32 v6, v21 offset:28
.LBB10_39:
	s_or_b32 exec_lo, exec_lo, s2
	v_mov_b32_e32 v6, v5
	s_waitcnt lgkmcnt(0)
	s_barrier
	buffer_gl0_inv
	s_and_saveexec_b32 s0, vcc_lo
	s_cbranch_execz .LBB10_41
; %bb.40:
	v_add_nc_u32_e32 v6, -1, v0
	s_delay_alu instid0(VALU_DEP_1) | instskip(NEXT) | instid1(VALU_DEP_1)
	v_lshrrev_b32_e32 v9, 5, v6
	v_add_lshl_u32 v6, v9, v6, 2
	ds_load_b32 v6, v6
.LBB10_41:
	s_or_b32 exec_lo, exec_lo, s0
	s_and_saveexec_b32 s0, vcc_lo
	s_cbranch_execz .LBB10_43
; %bb.42:
	s_waitcnt lgkmcnt(0)
	v_add_nc_u32_e32 v1, v6, v1
	;;#ASMSTART
	;;#ASMEND
	s_delay_alu instid0(VALU_DEP_1) | instskip(NEXT) | instid1(VALU_DEP_1)
	v_add_nc_u32_e32 v7, v1, v2
	v_add_nc_u32_e32 v8, v7, v3
	s_delay_alu instid0(VALU_DEP_1)
	v_add_nc_u32_e32 v5, v8, v4
.LBB10_43:
	s_or_b32 exec_lo, exec_lo, s0
	s_delay_alu instid0(SALU_CYCLE_1)
	s_mov_b32 s0, exec_lo
	v_cmpx_eq_u32_e32 0xff, v0
	s_cbranch_execz .LBB10_45
; %bb.44:
	v_mov_b32_e32 v2, 0
	s_waitcnt lgkmcnt(0)
	v_mov_b32_e32 v6, 2
	global_store_b64 v2, v[5:6], s[10:11] offset:256
.LBB10_45:
	s_or_b32 exec_lo, exec_lo, s0
	s_waitcnt lgkmcnt(0)
	v_mov_b32_e32 v6, v1
.LBB10_46:
	s_add_u32 s0, s8, s6
	v_lshlrev_b32_e32 v1, 4, v0
	s_addc_u32 s1, s9, s7
	s_add_u32 s0, s0, s4
	s_addc_u32 s1, s1, s5
	s_and_b32 vcc_lo, exec_lo, s22
	s_mov_b32 s2, -1
	s_waitcnt lgkmcnt(0)
	s_waitcnt_vscnt null, 0x0
	s_barrier
	buffer_gl0_inv
	s_cbranch_vccz .LBB10_48
; %bb.47:
	v_lshl_add_u32 v2, v16, 2, v1
	v_lshrrev_b32_e32 v3, 5, v14
	v_lshrrev_b32_e32 v4, 5, v13
	v_add_lshl_u32 v9, v17, v0, 2
	ds_store_2addr_b32 v2, v6, v7 offset1:1
	ds_store_2addr_b32 v2, v8, v5 offset0:2 offset1:3
	v_lshrrev_b32_e32 v2, 5, v12
	v_add_lshl_u32 v3, v3, v0, 2
	v_add_lshl_u32 v4, v4, v0, 2
	s_waitcnt lgkmcnt(0)
	s_barrier
	v_add_lshl_u32 v2, v2, v0, 2
	buffer_gl0_inv
	ds_load_b32 v9, v9
	ds_load_b32 v10, v3 offset:1024
	ds_load_b32 v4, v4 offset:2048
	;; [unrolled: 1-line block ×3, first 2 shown]
	v_add_co_u32 v2, s2, s0, v15
	s_delay_alu instid0(VALU_DEP_1)
	v_add_co_ci_u32_e64 v3, null, s1, 0, s2
	s_mov_b32 s2, 0
	s_waitcnt lgkmcnt(3)
	flat_store_b32 v[2:3], v9
	s_waitcnt lgkmcnt(3)
	flat_store_b32 v[2:3], v10 offset:1024
	s_waitcnt lgkmcnt(3)
	flat_store_b32 v[2:3], v4 offset:2048
	;; [unrolled: 2-line block ×3, first 2 shown]
.LBB10_48:
	s_and_not1_b32 vcc_lo, exec_lo, s2
	s_cbranch_vccnz .LBB10_54
; %bb.49:
	v_lshl_add_u32 v1, v16, 2, v1
	v_lshrrev_b32_e32 v2, 5, v14
	v_lshrrev_b32_e32 v3, 5, v13
	v_add_lshl_u32 v4, v17, v0, 2
	ds_store_2addr_b32 v1, v6, v7 offset1:1
	ds_store_2addr_b32 v1, v8, v5 offset0:2 offset1:3
	v_lshrrev_b32_e32 v1, 5, v12
	v_add_lshl_u32 v2, v2, v0, 2
	v_add_lshl_u32 v3, v3, v0, 2
	s_waitcnt lgkmcnt(0)
	s_waitcnt_vscnt null, 0x0
	s_barrier
	v_add_lshl_u32 v1, v1, v0, 2
	buffer_gl0_inv
	ds_load_b32 v5, v4
	ds_load_b32 v4, v2 offset:1024
	ds_load_b32 v6, v3 offset:2048
	;; [unrolled: 1-line block ×3, first 2 shown]
	v_add_co_u32 v2, s0, s0, v15
	v_mov_b32_e32 v1, 0
	v_add_co_ci_u32_e64 v3, null, s1, 0, s0
	s_mov_b32 s0, exec_lo
	v_cmpx_gt_u32_e64 s20, v0
	s_cbranch_execnz .LBB10_58
; %bb.50:
	s_or_b32 exec_lo, exec_lo, s0
	s_delay_alu instid0(SALU_CYCLE_1)
	s_mov_b32 s0, exec_lo
	v_cmpx_gt_u32_e64 s20, v14
	s_cbranch_execnz .LBB10_59
.LBB10_51:
	s_or_b32 exec_lo, exec_lo, s0
	s_delay_alu instid0(SALU_CYCLE_1)
	s_mov_b32 s0, exec_lo
	v_cmpx_gt_u32_e64 s20, v13
	s_cbranch_execnz .LBB10_60
.LBB10_52:
	s_or_b32 exec_lo, exec_lo, s0
	s_delay_alu instid0(SALU_CYCLE_1)
	s_mov_b32 s0, exec_lo
	v_cmpx_gt_u32_e64 s20, v12
	s_cbranch_execnz .LBB10_61
.LBB10_53:
	s_or_b32 exec_lo, exec_lo, s0
	v_cmp_lt_u64_e64 s0, s[18:19], 2
	s_delay_alu instid0(VALU_DEP_1)
	s_and_b32 vcc_lo, exec_lo, s0
	s_cbranch_vccz .LBB10_62
.LBB10_54:
	s_endpgm
.LBB10_55:
	v_add_co_u32 v4, s2, s12, v15
	s_delay_alu instid0(VALU_DEP_1) | instskip(SKIP_2) | instid1(SALU_CYCLE_1)
	v_add_co_ci_u32_e64 v5, null, s13, 0, s2
	flat_load_b32 v4, v[4:5]
	s_or_b32 exec_lo, exec_lo, s3
	s_mov_b32 s2, exec_lo
	v_cmpx_gt_u32_e64 s20, v14
	s_cbranch_execz .LBB10_5
.LBB10_56:
	v_add_co_u32 v5, s3, s12, v15
	s_delay_alu instid0(VALU_DEP_1) | instskip(SKIP_2) | instid1(SALU_CYCLE_1)
	v_add_co_ci_u32_e64 v6, null, s13, 0, s3
	flat_load_b32 v1, v[5:6] offset:1024
	s_or_b32 exec_lo, exec_lo, s2
	s_mov_b32 s2, exec_lo
	v_cmpx_gt_u32_e64 s20, v13
	s_cbranch_execz .LBB10_6
.LBB10_57:
	v_add_co_u32 v5, s3, s12, v15
	s_delay_alu instid0(VALU_DEP_1) | instskip(SKIP_2) | instid1(SALU_CYCLE_1)
	v_add_co_ci_u32_e64 v6, null, s13, 0, s3
	flat_load_b32 v3, v[5:6] offset:2048
	s_or_b32 exec_lo, exec_lo, s2
	s_mov_b32 s2, exec_lo
	v_cmpx_gt_u32_e64 s20, v12
	s_cbranch_execnz .LBB10_7
	s_branch .LBB10_8
.LBB10_58:
	s_waitcnt lgkmcnt(3)
	flat_store_b32 v[2:3], v5
	s_or_b32 exec_lo, exec_lo, s0
	s_delay_alu instid0(SALU_CYCLE_1)
	s_mov_b32 s0, exec_lo
	v_cmpx_gt_u32_e64 s20, v14
	s_cbranch_execz .LBB10_51
.LBB10_59:
	s_waitcnt lgkmcnt(2)
	flat_store_b32 v[2:3], v4 offset:1024
	s_or_b32 exec_lo, exec_lo, s0
	s_delay_alu instid0(SALU_CYCLE_1)
	s_mov_b32 s0, exec_lo
	v_cmpx_gt_u32_e64 s20, v13
	s_cbranch_execz .LBB10_52
.LBB10_60:
	s_waitcnt lgkmcnt(1)
	flat_store_b32 v[2:3], v6 offset:2048
	s_or_b32 exec_lo, exec_lo, s0
	s_delay_alu instid0(SALU_CYCLE_1)
	s_mov_b32 s0, exec_lo
	v_cmpx_gt_u32_e64 s20, v12
	s_cbranch_execz .LBB10_53
.LBB10_61:
	s_waitcnt lgkmcnt(0)
	flat_store_b32 v[2:3], v7 offset:3072
	s_or_b32 exec_lo, exec_lo, s0
	v_cmp_lt_u64_e64 s0, s[18:19], 2
	s_delay_alu instid0(VALU_DEP_1)
	s_and_b32 vcc_lo, exec_lo, s0
	s_cbranch_vccnz .LBB10_54
.LBB10_62:
	s_add_u32 s0, s20, -1
	s_addc_u32 s1, s21, -1
	s_delay_alu instid0(SALU_CYCLE_1)
	s_lshr_b64 s[2:3], s[0:1], 2
	s_mov_b32 s1, exec_lo
	v_cmpx_eq_u64_e64 s[2:3], v[0:1]
	s_cbranch_execz .LBB10_54
; %bb.63:
	s_and_b32 s0, s0, 3
	s_mov_b32 s1, 0
	s_delay_alu instid0(SALU_CYCLE_1) | instskip(NEXT) | instid1(VALU_DEP_1)
	v_cmp_lt_i64_e64 s2, s[0:1], 2
	s_and_b32 vcc_lo, exec_lo, s2
	s_mov_b32 s2, -1
	s_cbranch_vccnz .LBB10_69
; %bb.64:
	v_cmp_gt_i64_e64 s2, s[0:1], 2
	s_delay_alu instid0(VALU_DEP_1)
	s_and_b32 vcc_lo, exec_lo, s2
	s_mov_b32 s2, -1
	s_cbranch_vccz .LBB10_66
; %bb.65:
	v_mov_b32_e32 v0, 0
	s_mov_b32 s2, 0
	s_waitcnt lgkmcnt(0)
	global_store_b32 v0, v7, s[14:15]
.LBB10_66:
	s_and_not1_b32 vcc_lo, exec_lo, s2
	s_cbranch_vccnz .LBB10_68
; %bb.67:
	v_mov_b32_e32 v0, 0
	s_waitcnt lgkmcnt(1)
	global_store_b32 v0, v6, s[14:15]
.LBB10_68:
	s_mov_b32 s2, 0
.LBB10_69:
	s_delay_alu instid0(SALU_CYCLE_1)
	s_and_not1_b32 vcc_lo, exec_lo, s2
	s_cbranch_vccnz .LBB10_54
; %bb.70:
	s_cmp_eq_u64 s[0:1], 1
	s_mov_b32 s0, -1
	s_cbranch_scc1 .LBB10_72
; %bb.71:
	v_mov_b32_e32 v0, 0
	s_mov_b32 s0, 0
	s_waitcnt lgkmcnt(3)
	global_store_b32 v0, v5, s[14:15]
.LBB10_72:
	s_and_not1_b32 vcc_lo, exec_lo, s0
	s_cbranch_vccnz .LBB10_54
; %bb.73:
	v_mov_b32_e32 v0, 0
	s_waitcnt lgkmcnt(2)
	global_store_b32 v0, v4, s[14:15]
	s_endpgm
	.section	.rodata,"a",@progbits
	.p2align	6, 0x0
	.amdhsa_kernel _ZN7rocprim17ROCPRIM_400000_NS6detail17trampoline_kernelINS0_14default_configENS1_20scan_config_selectorIiEEZZNS1_9scan_implILNS1_25lookback_scan_determinismE0ELb0ELb0ES3_N6thrust23THRUST_200600_302600_NS6detail15normal_iteratorINS9_10device_ptrIiEEEESE_iNS9_4plusIvEEiEEDaPvRmT3_T4_T5_mT6_P12ihipStream_tbENKUlT_T0_E_clISt17integral_constantIbLb0EESU_EEDaSP_SQ_EUlSP_E_NS1_11comp_targetILNS1_3genE9ELNS1_11target_archE1100ELNS1_3gpuE3ELNS1_3repE0EEENS1_30default_config_static_selectorELNS0_4arch9wavefront6targetE0EEEvT1_
		.amdhsa_group_segment_fixed_size 4224
		.amdhsa_private_segment_fixed_size 0
		.amdhsa_kernarg_size 96
		.amdhsa_user_sgpr_count 15
		.amdhsa_user_sgpr_dispatch_ptr 0
		.amdhsa_user_sgpr_queue_ptr 0
		.amdhsa_user_sgpr_kernarg_segment_ptr 1
		.amdhsa_user_sgpr_dispatch_id 0
		.amdhsa_user_sgpr_private_segment_size 0
		.amdhsa_wavefront_size32 1
		.amdhsa_uses_dynamic_stack 0
		.amdhsa_enable_private_segment 0
		.amdhsa_system_sgpr_workgroup_id_x 1
		.amdhsa_system_sgpr_workgroup_id_y 0
		.amdhsa_system_sgpr_workgroup_id_z 0
		.amdhsa_system_sgpr_workgroup_info 0
		.amdhsa_system_vgpr_workitem_id 0
		.amdhsa_next_free_vgpr 32
		.amdhsa_next_free_sgpr 23
		.amdhsa_reserve_vcc 1
		.amdhsa_float_round_mode_32 0
		.amdhsa_float_round_mode_16_64 0
		.amdhsa_float_denorm_mode_32 3
		.amdhsa_float_denorm_mode_16_64 3
		.amdhsa_dx10_clamp 1
		.amdhsa_ieee_mode 1
		.amdhsa_fp16_overflow 0
		.amdhsa_workgroup_processor_mode 1
		.amdhsa_memory_ordered 1
		.amdhsa_forward_progress 0
		.amdhsa_shared_vgpr_count 0
		.amdhsa_exception_fp_ieee_invalid_op 0
		.amdhsa_exception_fp_denorm_src 0
		.amdhsa_exception_fp_ieee_div_zero 0
		.amdhsa_exception_fp_ieee_overflow 0
		.amdhsa_exception_fp_ieee_underflow 0
		.amdhsa_exception_fp_ieee_inexact 0
		.amdhsa_exception_int_div_zero 0
	.end_amdhsa_kernel
	.section	.text._ZN7rocprim17ROCPRIM_400000_NS6detail17trampoline_kernelINS0_14default_configENS1_20scan_config_selectorIiEEZZNS1_9scan_implILNS1_25lookback_scan_determinismE0ELb0ELb0ES3_N6thrust23THRUST_200600_302600_NS6detail15normal_iteratorINS9_10device_ptrIiEEEESE_iNS9_4plusIvEEiEEDaPvRmT3_T4_T5_mT6_P12ihipStream_tbENKUlT_T0_E_clISt17integral_constantIbLb0EESU_EEDaSP_SQ_EUlSP_E_NS1_11comp_targetILNS1_3genE9ELNS1_11target_archE1100ELNS1_3gpuE3ELNS1_3repE0EEENS1_30default_config_static_selectorELNS0_4arch9wavefront6targetE0EEEvT1_,"axG",@progbits,_ZN7rocprim17ROCPRIM_400000_NS6detail17trampoline_kernelINS0_14default_configENS1_20scan_config_selectorIiEEZZNS1_9scan_implILNS1_25lookback_scan_determinismE0ELb0ELb0ES3_N6thrust23THRUST_200600_302600_NS6detail15normal_iteratorINS9_10device_ptrIiEEEESE_iNS9_4plusIvEEiEEDaPvRmT3_T4_T5_mT6_P12ihipStream_tbENKUlT_T0_E_clISt17integral_constantIbLb0EESU_EEDaSP_SQ_EUlSP_E_NS1_11comp_targetILNS1_3genE9ELNS1_11target_archE1100ELNS1_3gpuE3ELNS1_3repE0EEENS1_30default_config_static_selectorELNS0_4arch9wavefront6targetE0EEEvT1_,comdat
.Lfunc_end10:
	.size	_ZN7rocprim17ROCPRIM_400000_NS6detail17trampoline_kernelINS0_14default_configENS1_20scan_config_selectorIiEEZZNS1_9scan_implILNS1_25lookback_scan_determinismE0ELb0ELb0ES3_N6thrust23THRUST_200600_302600_NS6detail15normal_iteratorINS9_10device_ptrIiEEEESE_iNS9_4plusIvEEiEEDaPvRmT3_T4_T5_mT6_P12ihipStream_tbENKUlT_T0_E_clISt17integral_constantIbLb0EESU_EEDaSP_SQ_EUlSP_E_NS1_11comp_targetILNS1_3genE9ELNS1_11target_archE1100ELNS1_3gpuE3ELNS1_3repE0EEENS1_30default_config_static_selectorELNS0_4arch9wavefront6targetE0EEEvT1_, .Lfunc_end10-_ZN7rocprim17ROCPRIM_400000_NS6detail17trampoline_kernelINS0_14default_configENS1_20scan_config_selectorIiEEZZNS1_9scan_implILNS1_25lookback_scan_determinismE0ELb0ELb0ES3_N6thrust23THRUST_200600_302600_NS6detail15normal_iteratorINS9_10device_ptrIiEEEESE_iNS9_4plusIvEEiEEDaPvRmT3_T4_T5_mT6_P12ihipStream_tbENKUlT_T0_E_clISt17integral_constantIbLb0EESU_EEDaSP_SQ_EUlSP_E_NS1_11comp_targetILNS1_3genE9ELNS1_11target_archE1100ELNS1_3gpuE3ELNS1_3repE0EEENS1_30default_config_static_selectorELNS0_4arch9wavefront6targetE0EEEvT1_
                                        ; -- End function
	.section	.AMDGPU.csdata,"",@progbits
; Kernel info:
; codeLenInByte = 4052
; NumSgprs: 25
; NumVgprs: 32
; ScratchSize: 0
; MemoryBound: 0
; FloatMode: 240
; IeeeMode: 1
; LDSByteSize: 4224 bytes/workgroup (compile time only)
; SGPRBlocks: 3
; VGPRBlocks: 3
; NumSGPRsForWavesPerEU: 25
; NumVGPRsForWavesPerEU: 32
; Occupancy: 16
; WaveLimiterHint : 1
; COMPUTE_PGM_RSRC2:SCRATCH_EN: 0
; COMPUTE_PGM_RSRC2:USER_SGPR: 15
; COMPUTE_PGM_RSRC2:TRAP_HANDLER: 0
; COMPUTE_PGM_RSRC2:TGID_X_EN: 1
; COMPUTE_PGM_RSRC2:TGID_Y_EN: 0
; COMPUTE_PGM_RSRC2:TGID_Z_EN: 0
; COMPUTE_PGM_RSRC2:TIDIG_COMP_CNT: 0
	.section	.text._ZN7rocprim17ROCPRIM_400000_NS6detail17trampoline_kernelINS0_14default_configENS1_20scan_config_selectorIiEEZZNS1_9scan_implILNS1_25lookback_scan_determinismE0ELb0ELb0ES3_N6thrust23THRUST_200600_302600_NS6detail15normal_iteratorINS9_10device_ptrIiEEEESE_iNS9_4plusIvEEiEEDaPvRmT3_T4_T5_mT6_P12ihipStream_tbENKUlT_T0_E_clISt17integral_constantIbLb0EESU_EEDaSP_SQ_EUlSP_E_NS1_11comp_targetILNS1_3genE8ELNS1_11target_archE1030ELNS1_3gpuE2ELNS1_3repE0EEENS1_30default_config_static_selectorELNS0_4arch9wavefront6targetE0EEEvT1_,"axG",@progbits,_ZN7rocprim17ROCPRIM_400000_NS6detail17trampoline_kernelINS0_14default_configENS1_20scan_config_selectorIiEEZZNS1_9scan_implILNS1_25lookback_scan_determinismE0ELb0ELb0ES3_N6thrust23THRUST_200600_302600_NS6detail15normal_iteratorINS9_10device_ptrIiEEEESE_iNS9_4plusIvEEiEEDaPvRmT3_T4_T5_mT6_P12ihipStream_tbENKUlT_T0_E_clISt17integral_constantIbLb0EESU_EEDaSP_SQ_EUlSP_E_NS1_11comp_targetILNS1_3genE8ELNS1_11target_archE1030ELNS1_3gpuE2ELNS1_3repE0EEENS1_30default_config_static_selectorELNS0_4arch9wavefront6targetE0EEEvT1_,comdat
	.protected	_ZN7rocprim17ROCPRIM_400000_NS6detail17trampoline_kernelINS0_14default_configENS1_20scan_config_selectorIiEEZZNS1_9scan_implILNS1_25lookback_scan_determinismE0ELb0ELb0ES3_N6thrust23THRUST_200600_302600_NS6detail15normal_iteratorINS9_10device_ptrIiEEEESE_iNS9_4plusIvEEiEEDaPvRmT3_T4_T5_mT6_P12ihipStream_tbENKUlT_T0_E_clISt17integral_constantIbLb0EESU_EEDaSP_SQ_EUlSP_E_NS1_11comp_targetILNS1_3genE8ELNS1_11target_archE1030ELNS1_3gpuE2ELNS1_3repE0EEENS1_30default_config_static_selectorELNS0_4arch9wavefront6targetE0EEEvT1_ ; -- Begin function _ZN7rocprim17ROCPRIM_400000_NS6detail17trampoline_kernelINS0_14default_configENS1_20scan_config_selectorIiEEZZNS1_9scan_implILNS1_25lookback_scan_determinismE0ELb0ELb0ES3_N6thrust23THRUST_200600_302600_NS6detail15normal_iteratorINS9_10device_ptrIiEEEESE_iNS9_4plusIvEEiEEDaPvRmT3_T4_T5_mT6_P12ihipStream_tbENKUlT_T0_E_clISt17integral_constantIbLb0EESU_EEDaSP_SQ_EUlSP_E_NS1_11comp_targetILNS1_3genE8ELNS1_11target_archE1030ELNS1_3gpuE2ELNS1_3repE0EEENS1_30default_config_static_selectorELNS0_4arch9wavefront6targetE0EEEvT1_
	.globl	_ZN7rocprim17ROCPRIM_400000_NS6detail17trampoline_kernelINS0_14default_configENS1_20scan_config_selectorIiEEZZNS1_9scan_implILNS1_25lookback_scan_determinismE0ELb0ELb0ES3_N6thrust23THRUST_200600_302600_NS6detail15normal_iteratorINS9_10device_ptrIiEEEESE_iNS9_4plusIvEEiEEDaPvRmT3_T4_T5_mT6_P12ihipStream_tbENKUlT_T0_E_clISt17integral_constantIbLb0EESU_EEDaSP_SQ_EUlSP_E_NS1_11comp_targetILNS1_3genE8ELNS1_11target_archE1030ELNS1_3gpuE2ELNS1_3repE0EEENS1_30default_config_static_selectorELNS0_4arch9wavefront6targetE0EEEvT1_
	.p2align	8
	.type	_ZN7rocprim17ROCPRIM_400000_NS6detail17trampoline_kernelINS0_14default_configENS1_20scan_config_selectorIiEEZZNS1_9scan_implILNS1_25lookback_scan_determinismE0ELb0ELb0ES3_N6thrust23THRUST_200600_302600_NS6detail15normal_iteratorINS9_10device_ptrIiEEEESE_iNS9_4plusIvEEiEEDaPvRmT3_T4_T5_mT6_P12ihipStream_tbENKUlT_T0_E_clISt17integral_constantIbLb0EESU_EEDaSP_SQ_EUlSP_E_NS1_11comp_targetILNS1_3genE8ELNS1_11target_archE1030ELNS1_3gpuE2ELNS1_3repE0EEENS1_30default_config_static_selectorELNS0_4arch9wavefront6targetE0EEEvT1_,@function
_ZN7rocprim17ROCPRIM_400000_NS6detail17trampoline_kernelINS0_14default_configENS1_20scan_config_selectorIiEEZZNS1_9scan_implILNS1_25lookback_scan_determinismE0ELb0ELb0ES3_N6thrust23THRUST_200600_302600_NS6detail15normal_iteratorINS9_10device_ptrIiEEEESE_iNS9_4plusIvEEiEEDaPvRmT3_T4_T5_mT6_P12ihipStream_tbENKUlT_T0_E_clISt17integral_constantIbLb0EESU_EEDaSP_SQ_EUlSP_E_NS1_11comp_targetILNS1_3genE8ELNS1_11target_archE1030ELNS1_3gpuE2ELNS1_3repE0EEENS1_30default_config_static_selectorELNS0_4arch9wavefront6targetE0EEEvT1_: ; @_ZN7rocprim17ROCPRIM_400000_NS6detail17trampoline_kernelINS0_14default_configENS1_20scan_config_selectorIiEEZZNS1_9scan_implILNS1_25lookback_scan_determinismE0ELb0ELb0ES3_N6thrust23THRUST_200600_302600_NS6detail15normal_iteratorINS9_10device_ptrIiEEEESE_iNS9_4plusIvEEiEEDaPvRmT3_T4_T5_mT6_P12ihipStream_tbENKUlT_T0_E_clISt17integral_constantIbLb0EESU_EEDaSP_SQ_EUlSP_E_NS1_11comp_targetILNS1_3genE8ELNS1_11target_archE1030ELNS1_3gpuE2ELNS1_3repE0EEENS1_30default_config_static_selectorELNS0_4arch9wavefront6targetE0EEEvT1_
; %bb.0:
	.section	.rodata,"a",@progbits
	.p2align	6, 0x0
	.amdhsa_kernel _ZN7rocprim17ROCPRIM_400000_NS6detail17trampoline_kernelINS0_14default_configENS1_20scan_config_selectorIiEEZZNS1_9scan_implILNS1_25lookback_scan_determinismE0ELb0ELb0ES3_N6thrust23THRUST_200600_302600_NS6detail15normal_iteratorINS9_10device_ptrIiEEEESE_iNS9_4plusIvEEiEEDaPvRmT3_T4_T5_mT6_P12ihipStream_tbENKUlT_T0_E_clISt17integral_constantIbLb0EESU_EEDaSP_SQ_EUlSP_E_NS1_11comp_targetILNS1_3genE8ELNS1_11target_archE1030ELNS1_3gpuE2ELNS1_3repE0EEENS1_30default_config_static_selectorELNS0_4arch9wavefront6targetE0EEEvT1_
		.amdhsa_group_segment_fixed_size 0
		.amdhsa_private_segment_fixed_size 0
		.amdhsa_kernarg_size 96
		.amdhsa_user_sgpr_count 15
		.amdhsa_user_sgpr_dispatch_ptr 0
		.amdhsa_user_sgpr_queue_ptr 0
		.amdhsa_user_sgpr_kernarg_segment_ptr 1
		.amdhsa_user_sgpr_dispatch_id 0
		.amdhsa_user_sgpr_private_segment_size 0
		.amdhsa_wavefront_size32 1
		.amdhsa_uses_dynamic_stack 0
		.amdhsa_enable_private_segment 0
		.amdhsa_system_sgpr_workgroup_id_x 1
		.amdhsa_system_sgpr_workgroup_id_y 0
		.amdhsa_system_sgpr_workgroup_id_z 0
		.amdhsa_system_sgpr_workgroup_info 0
		.amdhsa_system_vgpr_workitem_id 0
		.amdhsa_next_free_vgpr 1
		.amdhsa_next_free_sgpr 1
		.amdhsa_reserve_vcc 0
		.amdhsa_float_round_mode_32 0
		.amdhsa_float_round_mode_16_64 0
		.amdhsa_float_denorm_mode_32 3
		.amdhsa_float_denorm_mode_16_64 3
		.amdhsa_dx10_clamp 1
		.amdhsa_ieee_mode 1
		.amdhsa_fp16_overflow 0
		.amdhsa_workgroup_processor_mode 1
		.amdhsa_memory_ordered 1
		.amdhsa_forward_progress 0
		.amdhsa_shared_vgpr_count 0
		.amdhsa_exception_fp_ieee_invalid_op 0
		.amdhsa_exception_fp_denorm_src 0
		.amdhsa_exception_fp_ieee_div_zero 0
		.amdhsa_exception_fp_ieee_overflow 0
		.amdhsa_exception_fp_ieee_underflow 0
		.amdhsa_exception_fp_ieee_inexact 0
		.amdhsa_exception_int_div_zero 0
	.end_amdhsa_kernel
	.section	.text._ZN7rocprim17ROCPRIM_400000_NS6detail17trampoline_kernelINS0_14default_configENS1_20scan_config_selectorIiEEZZNS1_9scan_implILNS1_25lookback_scan_determinismE0ELb0ELb0ES3_N6thrust23THRUST_200600_302600_NS6detail15normal_iteratorINS9_10device_ptrIiEEEESE_iNS9_4plusIvEEiEEDaPvRmT3_T4_T5_mT6_P12ihipStream_tbENKUlT_T0_E_clISt17integral_constantIbLb0EESU_EEDaSP_SQ_EUlSP_E_NS1_11comp_targetILNS1_3genE8ELNS1_11target_archE1030ELNS1_3gpuE2ELNS1_3repE0EEENS1_30default_config_static_selectorELNS0_4arch9wavefront6targetE0EEEvT1_,"axG",@progbits,_ZN7rocprim17ROCPRIM_400000_NS6detail17trampoline_kernelINS0_14default_configENS1_20scan_config_selectorIiEEZZNS1_9scan_implILNS1_25lookback_scan_determinismE0ELb0ELb0ES3_N6thrust23THRUST_200600_302600_NS6detail15normal_iteratorINS9_10device_ptrIiEEEESE_iNS9_4plusIvEEiEEDaPvRmT3_T4_T5_mT6_P12ihipStream_tbENKUlT_T0_E_clISt17integral_constantIbLb0EESU_EEDaSP_SQ_EUlSP_E_NS1_11comp_targetILNS1_3genE8ELNS1_11target_archE1030ELNS1_3gpuE2ELNS1_3repE0EEENS1_30default_config_static_selectorELNS0_4arch9wavefront6targetE0EEEvT1_,comdat
.Lfunc_end11:
	.size	_ZN7rocprim17ROCPRIM_400000_NS6detail17trampoline_kernelINS0_14default_configENS1_20scan_config_selectorIiEEZZNS1_9scan_implILNS1_25lookback_scan_determinismE0ELb0ELb0ES3_N6thrust23THRUST_200600_302600_NS6detail15normal_iteratorINS9_10device_ptrIiEEEESE_iNS9_4plusIvEEiEEDaPvRmT3_T4_T5_mT6_P12ihipStream_tbENKUlT_T0_E_clISt17integral_constantIbLb0EESU_EEDaSP_SQ_EUlSP_E_NS1_11comp_targetILNS1_3genE8ELNS1_11target_archE1030ELNS1_3gpuE2ELNS1_3repE0EEENS1_30default_config_static_selectorELNS0_4arch9wavefront6targetE0EEEvT1_, .Lfunc_end11-_ZN7rocprim17ROCPRIM_400000_NS6detail17trampoline_kernelINS0_14default_configENS1_20scan_config_selectorIiEEZZNS1_9scan_implILNS1_25lookback_scan_determinismE0ELb0ELb0ES3_N6thrust23THRUST_200600_302600_NS6detail15normal_iteratorINS9_10device_ptrIiEEEESE_iNS9_4plusIvEEiEEDaPvRmT3_T4_T5_mT6_P12ihipStream_tbENKUlT_T0_E_clISt17integral_constantIbLb0EESU_EEDaSP_SQ_EUlSP_E_NS1_11comp_targetILNS1_3genE8ELNS1_11target_archE1030ELNS1_3gpuE2ELNS1_3repE0EEENS1_30default_config_static_selectorELNS0_4arch9wavefront6targetE0EEEvT1_
                                        ; -- End function
	.section	.AMDGPU.csdata,"",@progbits
; Kernel info:
; codeLenInByte = 0
; NumSgprs: 0
; NumVgprs: 0
; ScratchSize: 0
; MemoryBound: 0
; FloatMode: 240
; IeeeMode: 1
; LDSByteSize: 0 bytes/workgroup (compile time only)
; SGPRBlocks: 0
; VGPRBlocks: 0
; NumSGPRsForWavesPerEU: 1
; NumVGPRsForWavesPerEU: 1
; Occupancy: 16
; WaveLimiterHint : 0
; COMPUTE_PGM_RSRC2:SCRATCH_EN: 0
; COMPUTE_PGM_RSRC2:USER_SGPR: 15
; COMPUTE_PGM_RSRC2:TRAP_HANDLER: 0
; COMPUTE_PGM_RSRC2:TGID_X_EN: 1
; COMPUTE_PGM_RSRC2:TGID_Y_EN: 0
; COMPUTE_PGM_RSRC2:TGID_Z_EN: 0
; COMPUTE_PGM_RSRC2:TIDIG_COMP_CNT: 0
	.section	.text._ZN7rocprim17ROCPRIM_400000_NS6detail17trampoline_kernelINS0_14default_configENS1_25transform_config_selectorIiLb1EEEZNS1_14transform_implILb1ES3_S5_PiS7_NS0_8identityIiEEEE10hipError_tT2_T3_mT4_P12ihipStream_tbEUlT_E_NS1_11comp_targetILNS1_3genE0ELNS1_11target_archE4294967295ELNS1_3gpuE0ELNS1_3repE0EEENS1_30default_config_static_selectorELNS0_4arch9wavefront6targetE0EEEvT1_,"axG",@progbits,_ZN7rocprim17ROCPRIM_400000_NS6detail17trampoline_kernelINS0_14default_configENS1_25transform_config_selectorIiLb1EEEZNS1_14transform_implILb1ES3_S5_PiS7_NS0_8identityIiEEEE10hipError_tT2_T3_mT4_P12ihipStream_tbEUlT_E_NS1_11comp_targetILNS1_3genE0ELNS1_11target_archE4294967295ELNS1_3gpuE0ELNS1_3repE0EEENS1_30default_config_static_selectorELNS0_4arch9wavefront6targetE0EEEvT1_,comdat
	.protected	_ZN7rocprim17ROCPRIM_400000_NS6detail17trampoline_kernelINS0_14default_configENS1_25transform_config_selectorIiLb1EEEZNS1_14transform_implILb1ES3_S5_PiS7_NS0_8identityIiEEEE10hipError_tT2_T3_mT4_P12ihipStream_tbEUlT_E_NS1_11comp_targetILNS1_3genE0ELNS1_11target_archE4294967295ELNS1_3gpuE0ELNS1_3repE0EEENS1_30default_config_static_selectorELNS0_4arch9wavefront6targetE0EEEvT1_ ; -- Begin function _ZN7rocprim17ROCPRIM_400000_NS6detail17trampoline_kernelINS0_14default_configENS1_25transform_config_selectorIiLb1EEEZNS1_14transform_implILb1ES3_S5_PiS7_NS0_8identityIiEEEE10hipError_tT2_T3_mT4_P12ihipStream_tbEUlT_E_NS1_11comp_targetILNS1_3genE0ELNS1_11target_archE4294967295ELNS1_3gpuE0ELNS1_3repE0EEENS1_30default_config_static_selectorELNS0_4arch9wavefront6targetE0EEEvT1_
	.globl	_ZN7rocprim17ROCPRIM_400000_NS6detail17trampoline_kernelINS0_14default_configENS1_25transform_config_selectorIiLb1EEEZNS1_14transform_implILb1ES3_S5_PiS7_NS0_8identityIiEEEE10hipError_tT2_T3_mT4_P12ihipStream_tbEUlT_E_NS1_11comp_targetILNS1_3genE0ELNS1_11target_archE4294967295ELNS1_3gpuE0ELNS1_3repE0EEENS1_30default_config_static_selectorELNS0_4arch9wavefront6targetE0EEEvT1_
	.p2align	8
	.type	_ZN7rocprim17ROCPRIM_400000_NS6detail17trampoline_kernelINS0_14default_configENS1_25transform_config_selectorIiLb1EEEZNS1_14transform_implILb1ES3_S5_PiS7_NS0_8identityIiEEEE10hipError_tT2_T3_mT4_P12ihipStream_tbEUlT_E_NS1_11comp_targetILNS1_3genE0ELNS1_11target_archE4294967295ELNS1_3gpuE0ELNS1_3repE0EEENS1_30default_config_static_selectorELNS0_4arch9wavefront6targetE0EEEvT1_,@function
_ZN7rocprim17ROCPRIM_400000_NS6detail17trampoline_kernelINS0_14default_configENS1_25transform_config_selectorIiLb1EEEZNS1_14transform_implILb1ES3_S5_PiS7_NS0_8identityIiEEEE10hipError_tT2_T3_mT4_P12ihipStream_tbEUlT_E_NS1_11comp_targetILNS1_3genE0ELNS1_11target_archE4294967295ELNS1_3gpuE0ELNS1_3repE0EEENS1_30default_config_static_selectorELNS0_4arch9wavefront6targetE0EEEvT1_: ; @_ZN7rocprim17ROCPRIM_400000_NS6detail17trampoline_kernelINS0_14default_configENS1_25transform_config_selectorIiLb1EEEZNS1_14transform_implILb1ES3_S5_PiS7_NS0_8identityIiEEEE10hipError_tT2_T3_mT4_P12ihipStream_tbEUlT_E_NS1_11comp_targetILNS1_3genE0ELNS1_11target_archE4294967295ELNS1_3gpuE0ELNS1_3repE0EEENS1_30default_config_static_selectorELNS0_4arch9wavefront6targetE0EEEvT1_
; %bb.0:
	.section	.rodata,"a",@progbits
	.p2align	6, 0x0
	.amdhsa_kernel _ZN7rocprim17ROCPRIM_400000_NS6detail17trampoline_kernelINS0_14default_configENS1_25transform_config_selectorIiLb1EEEZNS1_14transform_implILb1ES3_S5_PiS7_NS0_8identityIiEEEE10hipError_tT2_T3_mT4_P12ihipStream_tbEUlT_E_NS1_11comp_targetILNS1_3genE0ELNS1_11target_archE4294967295ELNS1_3gpuE0ELNS1_3repE0EEENS1_30default_config_static_selectorELNS0_4arch9wavefront6targetE0EEEvT1_
		.amdhsa_group_segment_fixed_size 0
		.amdhsa_private_segment_fixed_size 0
		.amdhsa_kernarg_size 40
		.amdhsa_user_sgpr_count 15
		.amdhsa_user_sgpr_dispatch_ptr 0
		.amdhsa_user_sgpr_queue_ptr 0
		.amdhsa_user_sgpr_kernarg_segment_ptr 1
		.amdhsa_user_sgpr_dispatch_id 0
		.amdhsa_user_sgpr_private_segment_size 0
		.amdhsa_wavefront_size32 1
		.amdhsa_uses_dynamic_stack 0
		.amdhsa_enable_private_segment 0
		.amdhsa_system_sgpr_workgroup_id_x 1
		.amdhsa_system_sgpr_workgroup_id_y 0
		.amdhsa_system_sgpr_workgroup_id_z 0
		.amdhsa_system_sgpr_workgroup_info 0
		.amdhsa_system_vgpr_workitem_id 0
		.amdhsa_next_free_vgpr 1
		.amdhsa_next_free_sgpr 1
		.amdhsa_reserve_vcc 0
		.amdhsa_float_round_mode_32 0
		.amdhsa_float_round_mode_16_64 0
		.amdhsa_float_denorm_mode_32 3
		.amdhsa_float_denorm_mode_16_64 3
		.amdhsa_dx10_clamp 1
		.amdhsa_ieee_mode 1
		.amdhsa_fp16_overflow 0
		.amdhsa_workgroup_processor_mode 1
		.amdhsa_memory_ordered 1
		.amdhsa_forward_progress 0
		.amdhsa_shared_vgpr_count 0
		.amdhsa_exception_fp_ieee_invalid_op 0
		.amdhsa_exception_fp_denorm_src 0
		.amdhsa_exception_fp_ieee_div_zero 0
		.amdhsa_exception_fp_ieee_overflow 0
		.amdhsa_exception_fp_ieee_underflow 0
		.amdhsa_exception_fp_ieee_inexact 0
		.amdhsa_exception_int_div_zero 0
	.end_amdhsa_kernel
	.section	.text._ZN7rocprim17ROCPRIM_400000_NS6detail17trampoline_kernelINS0_14default_configENS1_25transform_config_selectorIiLb1EEEZNS1_14transform_implILb1ES3_S5_PiS7_NS0_8identityIiEEEE10hipError_tT2_T3_mT4_P12ihipStream_tbEUlT_E_NS1_11comp_targetILNS1_3genE0ELNS1_11target_archE4294967295ELNS1_3gpuE0ELNS1_3repE0EEENS1_30default_config_static_selectorELNS0_4arch9wavefront6targetE0EEEvT1_,"axG",@progbits,_ZN7rocprim17ROCPRIM_400000_NS6detail17trampoline_kernelINS0_14default_configENS1_25transform_config_selectorIiLb1EEEZNS1_14transform_implILb1ES3_S5_PiS7_NS0_8identityIiEEEE10hipError_tT2_T3_mT4_P12ihipStream_tbEUlT_E_NS1_11comp_targetILNS1_3genE0ELNS1_11target_archE4294967295ELNS1_3gpuE0ELNS1_3repE0EEENS1_30default_config_static_selectorELNS0_4arch9wavefront6targetE0EEEvT1_,comdat
.Lfunc_end12:
	.size	_ZN7rocprim17ROCPRIM_400000_NS6detail17trampoline_kernelINS0_14default_configENS1_25transform_config_selectorIiLb1EEEZNS1_14transform_implILb1ES3_S5_PiS7_NS0_8identityIiEEEE10hipError_tT2_T3_mT4_P12ihipStream_tbEUlT_E_NS1_11comp_targetILNS1_3genE0ELNS1_11target_archE4294967295ELNS1_3gpuE0ELNS1_3repE0EEENS1_30default_config_static_selectorELNS0_4arch9wavefront6targetE0EEEvT1_, .Lfunc_end12-_ZN7rocprim17ROCPRIM_400000_NS6detail17trampoline_kernelINS0_14default_configENS1_25transform_config_selectorIiLb1EEEZNS1_14transform_implILb1ES3_S5_PiS7_NS0_8identityIiEEEE10hipError_tT2_T3_mT4_P12ihipStream_tbEUlT_E_NS1_11comp_targetILNS1_3genE0ELNS1_11target_archE4294967295ELNS1_3gpuE0ELNS1_3repE0EEENS1_30default_config_static_selectorELNS0_4arch9wavefront6targetE0EEEvT1_
                                        ; -- End function
	.section	.AMDGPU.csdata,"",@progbits
; Kernel info:
; codeLenInByte = 0
; NumSgprs: 0
; NumVgprs: 0
; ScratchSize: 0
; MemoryBound: 0
; FloatMode: 240
; IeeeMode: 1
; LDSByteSize: 0 bytes/workgroup (compile time only)
; SGPRBlocks: 0
; VGPRBlocks: 0
; NumSGPRsForWavesPerEU: 1
; NumVGPRsForWavesPerEU: 1
; Occupancy: 16
; WaveLimiterHint : 0
; COMPUTE_PGM_RSRC2:SCRATCH_EN: 0
; COMPUTE_PGM_RSRC2:USER_SGPR: 15
; COMPUTE_PGM_RSRC2:TRAP_HANDLER: 0
; COMPUTE_PGM_RSRC2:TGID_X_EN: 1
; COMPUTE_PGM_RSRC2:TGID_Y_EN: 0
; COMPUTE_PGM_RSRC2:TGID_Z_EN: 0
; COMPUTE_PGM_RSRC2:TIDIG_COMP_CNT: 0
	.section	.text._ZN7rocprim17ROCPRIM_400000_NS6detail17trampoline_kernelINS0_14default_configENS1_25transform_config_selectorIiLb1EEEZNS1_14transform_implILb1ES3_S5_PiS7_NS0_8identityIiEEEE10hipError_tT2_T3_mT4_P12ihipStream_tbEUlT_E_NS1_11comp_targetILNS1_3genE10ELNS1_11target_archE1201ELNS1_3gpuE5ELNS1_3repE0EEENS1_30default_config_static_selectorELNS0_4arch9wavefront6targetE0EEEvT1_,"axG",@progbits,_ZN7rocprim17ROCPRIM_400000_NS6detail17trampoline_kernelINS0_14default_configENS1_25transform_config_selectorIiLb1EEEZNS1_14transform_implILb1ES3_S5_PiS7_NS0_8identityIiEEEE10hipError_tT2_T3_mT4_P12ihipStream_tbEUlT_E_NS1_11comp_targetILNS1_3genE10ELNS1_11target_archE1201ELNS1_3gpuE5ELNS1_3repE0EEENS1_30default_config_static_selectorELNS0_4arch9wavefront6targetE0EEEvT1_,comdat
	.protected	_ZN7rocprim17ROCPRIM_400000_NS6detail17trampoline_kernelINS0_14default_configENS1_25transform_config_selectorIiLb1EEEZNS1_14transform_implILb1ES3_S5_PiS7_NS0_8identityIiEEEE10hipError_tT2_T3_mT4_P12ihipStream_tbEUlT_E_NS1_11comp_targetILNS1_3genE10ELNS1_11target_archE1201ELNS1_3gpuE5ELNS1_3repE0EEENS1_30default_config_static_selectorELNS0_4arch9wavefront6targetE0EEEvT1_ ; -- Begin function _ZN7rocprim17ROCPRIM_400000_NS6detail17trampoline_kernelINS0_14default_configENS1_25transform_config_selectorIiLb1EEEZNS1_14transform_implILb1ES3_S5_PiS7_NS0_8identityIiEEEE10hipError_tT2_T3_mT4_P12ihipStream_tbEUlT_E_NS1_11comp_targetILNS1_3genE10ELNS1_11target_archE1201ELNS1_3gpuE5ELNS1_3repE0EEENS1_30default_config_static_selectorELNS0_4arch9wavefront6targetE0EEEvT1_
	.globl	_ZN7rocprim17ROCPRIM_400000_NS6detail17trampoline_kernelINS0_14default_configENS1_25transform_config_selectorIiLb1EEEZNS1_14transform_implILb1ES3_S5_PiS7_NS0_8identityIiEEEE10hipError_tT2_T3_mT4_P12ihipStream_tbEUlT_E_NS1_11comp_targetILNS1_3genE10ELNS1_11target_archE1201ELNS1_3gpuE5ELNS1_3repE0EEENS1_30default_config_static_selectorELNS0_4arch9wavefront6targetE0EEEvT1_
	.p2align	8
	.type	_ZN7rocprim17ROCPRIM_400000_NS6detail17trampoline_kernelINS0_14default_configENS1_25transform_config_selectorIiLb1EEEZNS1_14transform_implILb1ES3_S5_PiS7_NS0_8identityIiEEEE10hipError_tT2_T3_mT4_P12ihipStream_tbEUlT_E_NS1_11comp_targetILNS1_3genE10ELNS1_11target_archE1201ELNS1_3gpuE5ELNS1_3repE0EEENS1_30default_config_static_selectorELNS0_4arch9wavefront6targetE0EEEvT1_,@function
_ZN7rocprim17ROCPRIM_400000_NS6detail17trampoline_kernelINS0_14default_configENS1_25transform_config_selectorIiLb1EEEZNS1_14transform_implILb1ES3_S5_PiS7_NS0_8identityIiEEEE10hipError_tT2_T3_mT4_P12ihipStream_tbEUlT_E_NS1_11comp_targetILNS1_3genE10ELNS1_11target_archE1201ELNS1_3gpuE5ELNS1_3repE0EEENS1_30default_config_static_selectorELNS0_4arch9wavefront6targetE0EEEvT1_: ; @_ZN7rocprim17ROCPRIM_400000_NS6detail17trampoline_kernelINS0_14default_configENS1_25transform_config_selectorIiLb1EEEZNS1_14transform_implILb1ES3_S5_PiS7_NS0_8identityIiEEEE10hipError_tT2_T3_mT4_P12ihipStream_tbEUlT_E_NS1_11comp_targetILNS1_3genE10ELNS1_11target_archE1201ELNS1_3gpuE5ELNS1_3repE0EEENS1_30default_config_static_selectorELNS0_4arch9wavefront6targetE0EEEvT1_
; %bb.0:
	.section	.rodata,"a",@progbits
	.p2align	6, 0x0
	.amdhsa_kernel _ZN7rocprim17ROCPRIM_400000_NS6detail17trampoline_kernelINS0_14default_configENS1_25transform_config_selectorIiLb1EEEZNS1_14transform_implILb1ES3_S5_PiS7_NS0_8identityIiEEEE10hipError_tT2_T3_mT4_P12ihipStream_tbEUlT_E_NS1_11comp_targetILNS1_3genE10ELNS1_11target_archE1201ELNS1_3gpuE5ELNS1_3repE0EEENS1_30default_config_static_selectorELNS0_4arch9wavefront6targetE0EEEvT1_
		.amdhsa_group_segment_fixed_size 0
		.amdhsa_private_segment_fixed_size 0
		.amdhsa_kernarg_size 40
		.amdhsa_user_sgpr_count 15
		.amdhsa_user_sgpr_dispatch_ptr 0
		.amdhsa_user_sgpr_queue_ptr 0
		.amdhsa_user_sgpr_kernarg_segment_ptr 1
		.amdhsa_user_sgpr_dispatch_id 0
		.amdhsa_user_sgpr_private_segment_size 0
		.amdhsa_wavefront_size32 1
		.amdhsa_uses_dynamic_stack 0
		.amdhsa_enable_private_segment 0
		.amdhsa_system_sgpr_workgroup_id_x 1
		.amdhsa_system_sgpr_workgroup_id_y 0
		.amdhsa_system_sgpr_workgroup_id_z 0
		.amdhsa_system_sgpr_workgroup_info 0
		.amdhsa_system_vgpr_workitem_id 0
		.amdhsa_next_free_vgpr 1
		.amdhsa_next_free_sgpr 1
		.amdhsa_reserve_vcc 0
		.amdhsa_float_round_mode_32 0
		.amdhsa_float_round_mode_16_64 0
		.amdhsa_float_denorm_mode_32 3
		.amdhsa_float_denorm_mode_16_64 3
		.amdhsa_dx10_clamp 1
		.amdhsa_ieee_mode 1
		.amdhsa_fp16_overflow 0
		.amdhsa_workgroup_processor_mode 1
		.amdhsa_memory_ordered 1
		.amdhsa_forward_progress 0
		.amdhsa_shared_vgpr_count 0
		.amdhsa_exception_fp_ieee_invalid_op 0
		.amdhsa_exception_fp_denorm_src 0
		.amdhsa_exception_fp_ieee_div_zero 0
		.amdhsa_exception_fp_ieee_overflow 0
		.amdhsa_exception_fp_ieee_underflow 0
		.amdhsa_exception_fp_ieee_inexact 0
		.amdhsa_exception_int_div_zero 0
	.end_amdhsa_kernel
	.section	.text._ZN7rocprim17ROCPRIM_400000_NS6detail17trampoline_kernelINS0_14default_configENS1_25transform_config_selectorIiLb1EEEZNS1_14transform_implILb1ES3_S5_PiS7_NS0_8identityIiEEEE10hipError_tT2_T3_mT4_P12ihipStream_tbEUlT_E_NS1_11comp_targetILNS1_3genE10ELNS1_11target_archE1201ELNS1_3gpuE5ELNS1_3repE0EEENS1_30default_config_static_selectorELNS0_4arch9wavefront6targetE0EEEvT1_,"axG",@progbits,_ZN7rocprim17ROCPRIM_400000_NS6detail17trampoline_kernelINS0_14default_configENS1_25transform_config_selectorIiLb1EEEZNS1_14transform_implILb1ES3_S5_PiS7_NS0_8identityIiEEEE10hipError_tT2_T3_mT4_P12ihipStream_tbEUlT_E_NS1_11comp_targetILNS1_3genE10ELNS1_11target_archE1201ELNS1_3gpuE5ELNS1_3repE0EEENS1_30default_config_static_selectorELNS0_4arch9wavefront6targetE0EEEvT1_,comdat
.Lfunc_end13:
	.size	_ZN7rocprim17ROCPRIM_400000_NS6detail17trampoline_kernelINS0_14default_configENS1_25transform_config_selectorIiLb1EEEZNS1_14transform_implILb1ES3_S5_PiS7_NS0_8identityIiEEEE10hipError_tT2_T3_mT4_P12ihipStream_tbEUlT_E_NS1_11comp_targetILNS1_3genE10ELNS1_11target_archE1201ELNS1_3gpuE5ELNS1_3repE0EEENS1_30default_config_static_selectorELNS0_4arch9wavefront6targetE0EEEvT1_, .Lfunc_end13-_ZN7rocprim17ROCPRIM_400000_NS6detail17trampoline_kernelINS0_14default_configENS1_25transform_config_selectorIiLb1EEEZNS1_14transform_implILb1ES3_S5_PiS7_NS0_8identityIiEEEE10hipError_tT2_T3_mT4_P12ihipStream_tbEUlT_E_NS1_11comp_targetILNS1_3genE10ELNS1_11target_archE1201ELNS1_3gpuE5ELNS1_3repE0EEENS1_30default_config_static_selectorELNS0_4arch9wavefront6targetE0EEEvT1_
                                        ; -- End function
	.section	.AMDGPU.csdata,"",@progbits
; Kernel info:
; codeLenInByte = 0
; NumSgprs: 0
; NumVgprs: 0
; ScratchSize: 0
; MemoryBound: 0
; FloatMode: 240
; IeeeMode: 1
; LDSByteSize: 0 bytes/workgroup (compile time only)
; SGPRBlocks: 0
; VGPRBlocks: 0
; NumSGPRsForWavesPerEU: 1
; NumVGPRsForWavesPerEU: 1
; Occupancy: 16
; WaveLimiterHint : 0
; COMPUTE_PGM_RSRC2:SCRATCH_EN: 0
; COMPUTE_PGM_RSRC2:USER_SGPR: 15
; COMPUTE_PGM_RSRC2:TRAP_HANDLER: 0
; COMPUTE_PGM_RSRC2:TGID_X_EN: 1
; COMPUTE_PGM_RSRC2:TGID_Y_EN: 0
; COMPUTE_PGM_RSRC2:TGID_Z_EN: 0
; COMPUTE_PGM_RSRC2:TIDIG_COMP_CNT: 0
	.section	.text._ZN7rocprim17ROCPRIM_400000_NS6detail17trampoline_kernelINS0_14default_configENS1_25transform_config_selectorIiLb1EEEZNS1_14transform_implILb1ES3_S5_PiS7_NS0_8identityIiEEEE10hipError_tT2_T3_mT4_P12ihipStream_tbEUlT_E_NS1_11comp_targetILNS1_3genE5ELNS1_11target_archE942ELNS1_3gpuE9ELNS1_3repE0EEENS1_30default_config_static_selectorELNS0_4arch9wavefront6targetE0EEEvT1_,"axG",@progbits,_ZN7rocprim17ROCPRIM_400000_NS6detail17trampoline_kernelINS0_14default_configENS1_25transform_config_selectorIiLb1EEEZNS1_14transform_implILb1ES3_S5_PiS7_NS0_8identityIiEEEE10hipError_tT2_T3_mT4_P12ihipStream_tbEUlT_E_NS1_11comp_targetILNS1_3genE5ELNS1_11target_archE942ELNS1_3gpuE9ELNS1_3repE0EEENS1_30default_config_static_selectorELNS0_4arch9wavefront6targetE0EEEvT1_,comdat
	.protected	_ZN7rocprim17ROCPRIM_400000_NS6detail17trampoline_kernelINS0_14default_configENS1_25transform_config_selectorIiLb1EEEZNS1_14transform_implILb1ES3_S5_PiS7_NS0_8identityIiEEEE10hipError_tT2_T3_mT4_P12ihipStream_tbEUlT_E_NS1_11comp_targetILNS1_3genE5ELNS1_11target_archE942ELNS1_3gpuE9ELNS1_3repE0EEENS1_30default_config_static_selectorELNS0_4arch9wavefront6targetE0EEEvT1_ ; -- Begin function _ZN7rocprim17ROCPRIM_400000_NS6detail17trampoline_kernelINS0_14default_configENS1_25transform_config_selectorIiLb1EEEZNS1_14transform_implILb1ES3_S5_PiS7_NS0_8identityIiEEEE10hipError_tT2_T3_mT4_P12ihipStream_tbEUlT_E_NS1_11comp_targetILNS1_3genE5ELNS1_11target_archE942ELNS1_3gpuE9ELNS1_3repE0EEENS1_30default_config_static_selectorELNS0_4arch9wavefront6targetE0EEEvT1_
	.globl	_ZN7rocprim17ROCPRIM_400000_NS6detail17trampoline_kernelINS0_14default_configENS1_25transform_config_selectorIiLb1EEEZNS1_14transform_implILb1ES3_S5_PiS7_NS0_8identityIiEEEE10hipError_tT2_T3_mT4_P12ihipStream_tbEUlT_E_NS1_11comp_targetILNS1_3genE5ELNS1_11target_archE942ELNS1_3gpuE9ELNS1_3repE0EEENS1_30default_config_static_selectorELNS0_4arch9wavefront6targetE0EEEvT1_
	.p2align	8
	.type	_ZN7rocprim17ROCPRIM_400000_NS6detail17trampoline_kernelINS0_14default_configENS1_25transform_config_selectorIiLb1EEEZNS1_14transform_implILb1ES3_S5_PiS7_NS0_8identityIiEEEE10hipError_tT2_T3_mT4_P12ihipStream_tbEUlT_E_NS1_11comp_targetILNS1_3genE5ELNS1_11target_archE942ELNS1_3gpuE9ELNS1_3repE0EEENS1_30default_config_static_selectorELNS0_4arch9wavefront6targetE0EEEvT1_,@function
_ZN7rocprim17ROCPRIM_400000_NS6detail17trampoline_kernelINS0_14default_configENS1_25transform_config_selectorIiLb1EEEZNS1_14transform_implILb1ES3_S5_PiS7_NS0_8identityIiEEEE10hipError_tT2_T3_mT4_P12ihipStream_tbEUlT_E_NS1_11comp_targetILNS1_3genE5ELNS1_11target_archE942ELNS1_3gpuE9ELNS1_3repE0EEENS1_30default_config_static_selectorELNS0_4arch9wavefront6targetE0EEEvT1_: ; @_ZN7rocprim17ROCPRIM_400000_NS6detail17trampoline_kernelINS0_14default_configENS1_25transform_config_selectorIiLb1EEEZNS1_14transform_implILb1ES3_S5_PiS7_NS0_8identityIiEEEE10hipError_tT2_T3_mT4_P12ihipStream_tbEUlT_E_NS1_11comp_targetILNS1_3genE5ELNS1_11target_archE942ELNS1_3gpuE9ELNS1_3repE0EEENS1_30default_config_static_selectorELNS0_4arch9wavefront6targetE0EEEvT1_
; %bb.0:
	.section	.rodata,"a",@progbits
	.p2align	6, 0x0
	.amdhsa_kernel _ZN7rocprim17ROCPRIM_400000_NS6detail17trampoline_kernelINS0_14default_configENS1_25transform_config_selectorIiLb1EEEZNS1_14transform_implILb1ES3_S5_PiS7_NS0_8identityIiEEEE10hipError_tT2_T3_mT4_P12ihipStream_tbEUlT_E_NS1_11comp_targetILNS1_3genE5ELNS1_11target_archE942ELNS1_3gpuE9ELNS1_3repE0EEENS1_30default_config_static_selectorELNS0_4arch9wavefront6targetE0EEEvT1_
		.amdhsa_group_segment_fixed_size 0
		.amdhsa_private_segment_fixed_size 0
		.amdhsa_kernarg_size 40
		.amdhsa_user_sgpr_count 15
		.amdhsa_user_sgpr_dispatch_ptr 0
		.amdhsa_user_sgpr_queue_ptr 0
		.amdhsa_user_sgpr_kernarg_segment_ptr 1
		.amdhsa_user_sgpr_dispatch_id 0
		.amdhsa_user_sgpr_private_segment_size 0
		.amdhsa_wavefront_size32 1
		.amdhsa_uses_dynamic_stack 0
		.amdhsa_enable_private_segment 0
		.amdhsa_system_sgpr_workgroup_id_x 1
		.amdhsa_system_sgpr_workgroup_id_y 0
		.amdhsa_system_sgpr_workgroup_id_z 0
		.amdhsa_system_sgpr_workgroup_info 0
		.amdhsa_system_vgpr_workitem_id 0
		.amdhsa_next_free_vgpr 1
		.amdhsa_next_free_sgpr 1
		.amdhsa_reserve_vcc 0
		.amdhsa_float_round_mode_32 0
		.amdhsa_float_round_mode_16_64 0
		.amdhsa_float_denorm_mode_32 3
		.amdhsa_float_denorm_mode_16_64 3
		.amdhsa_dx10_clamp 1
		.amdhsa_ieee_mode 1
		.amdhsa_fp16_overflow 0
		.amdhsa_workgroup_processor_mode 1
		.amdhsa_memory_ordered 1
		.amdhsa_forward_progress 0
		.amdhsa_shared_vgpr_count 0
		.amdhsa_exception_fp_ieee_invalid_op 0
		.amdhsa_exception_fp_denorm_src 0
		.amdhsa_exception_fp_ieee_div_zero 0
		.amdhsa_exception_fp_ieee_overflow 0
		.amdhsa_exception_fp_ieee_underflow 0
		.amdhsa_exception_fp_ieee_inexact 0
		.amdhsa_exception_int_div_zero 0
	.end_amdhsa_kernel
	.section	.text._ZN7rocprim17ROCPRIM_400000_NS6detail17trampoline_kernelINS0_14default_configENS1_25transform_config_selectorIiLb1EEEZNS1_14transform_implILb1ES3_S5_PiS7_NS0_8identityIiEEEE10hipError_tT2_T3_mT4_P12ihipStream_tbEUlT_E_NS1_11comp_targetILNS1_3genE5ELNS1_11target_archE942ELNS1_3gpuE9ELNS1_3repE0EEENS1_30default_config_static_selectorELNS0_4arch9wavefront6targetE0EEEvT1_,"axG",@progbits,_ZN7rocprim17ROCPRIM_400000_NS6detail17trampoline_kernelINS0_14default_configENS1_25transform_config_selectorIiLb1EEEZNS1_14transform_implILb1ES3_S5_PiS7_NS0_8identityIiEEEE10hipError_tT2_T3_mT4_P12ihipStream_tbEUlT_E_NS1_11comp_targetILNS1_3genE5ELNS1_11target_archE942ELNS1_3gpuE9ELNS1_3repE0EEENS1_30default_config_static_selectorELNS0_4arch9wavefront6targetE0EEEvT1_,comdat
.Lfunc_end14:
	.size	_ZN7rocprim17ROCPRIM_400000_NS6detail17trampoline_kernelINS0_14default_configENS1_25transform_config_selectorIiLb1EEEZNS1_14transform_implILb1ES3_S5_PiS7_NS0_8identityIiEEEE10hipError_tT2_T3_mT4_P12ihipStream_tbEUlT_E_NS1_11comp_targetILNS1_3genE5ELNS1_11target_archE942ELNS1_3gpuE9ELNS1_3repE0EEENS1_30default_config_static_selectorELNS0_4arch9wavefront6targetE0EEEvT1_, .Lfunc_end14-_ZN7rocprim17ROCPRIM_400000_NS6detail17trampoline_kernelINS0_14default_configENS1_25transform_config_selectorIiLb1EEEZNS1_14transform_implILb1ES3_S5_PiS7_NS0_8identityIiEEEE10hipError_tT2_T3_mT4_P12ihipStream_tbEUlT_E_NS1_11comp_targetILNS1_3genE5ELNS1_11target_archE942ELNS1_3gpuE9ELNS1_3repE0EEENS1_30default_config_static_selectorELNS0_4arch9wavefront6targetE0EEEvT1_
                                        ; -- End function
	.section	.AMDGPU.csdata,"",@progbits
; Kernel info:
; codeLenInByte = 0
; NumSgprs: 0
; NumVgprs: 0
; ScratchSize: 0
; MemoryBound: 0
; FloatMode: 240
; IeeeMode: 1
; LDSByteSize: 0 bytes/workgroup (compile time only)
; SGPRBlocks: 0
; VGPRBlocks: 0
; NumSGPRsForWavesPerEU: 1
; NumVGPRsForWavesPerEU: 1
; Occupancy: 16
; WaveLimiterHint : 0
; COMPUTE_PGM_RSRC2:SCRATCH_EN: 0
; COMPUTE_PGM_RSRC2:USER_SGPR: 15
; COMPUTE_PGM_RSRC2:TRAP_HANDLER: 0
; COMPUTE_PGM_RSRC2:TGID_X_EN: 1
; COMPUTE_PGM_RSRC2:TGID_Y_EN: 0
; COMPUTE_PGM_RSRC2:TGID_Z_EN: 0
; COMPUTE_PGM_RSRC2:TIDIG_COMP_CNT: 0
	.section	.text._ZN7rocprim17ROCPRIM_400000_NS6detail17trampoline_kernelINS0_14default_configENS1_25transform_config_selectorIiLb1EEEZNS1_14transform_implILb1ES3_S5_PiS7_NS0_8identityIiEEEE10hipError_tT2_T3_mT4_P12ihipStream_tbEUlT_E_NS1_11comp_targetILNS1_3genE4ELNS1_11target_archE910ELNS1_3gpuE8ELNS1_3repE0EEENS1_30default_config_static_selectorELNS0_4arch9wavefront6targetE0EEEvT1_,"axG",@progbits,_ZN7rocprim17ROCPRIM_400000_NS6detail17trampoline_kernelINS0_14default_configENS1_25transform_config_selectorIiLb1EEEZNS1_14transform_implILb1ES3_S5_PiS7_NS0_8identityIiEEEE10hipError_tT2_T3_mT4_P12ihipStream_tbEUlT_E_NS1_11comp_targetILNS1_3genE4ELNS1_11target_archE910ELNS1_3gpuE8ELNS1_3repE0EEENS1_30default_config_static_selectorELNS0_4arch9wavefront6targetE0EEEvT1_,comdat
	.protected	_ZN7rocprim17ROCPRIM_400000_NS6detail17trampoline_kernelINS0_14default_configENS1_25transform_config_selectorIiLb1EEEZNS1_14transform_implILb1ES3_S5_PiS7_NS0_8identityIiEEEE10hipError_tT2_T3_mT4_P12ihipStream_tbEUlT_E_NS1_11comp_targetILNS1_3genE4ELNS1_11target_archE910ELNS1_3gpuE8ELNS1_3repE0EEENS1_30default_config_static_selectorELNS0_4arch9wavefront6targetE0EEEvT1_ ; -- Begin function _ZN7rocprim17ROCPRIM_400000_NS6detail17trampoline_kernelINS0_14default_configENS1_25transform_config_selectorIiLb1EEEZNS1_14transform_implILb1ES3_S5_PiS7_NS0_8identityIiEEEE10hipError_tT2_T3_mT4_P12ihipStream_tbEUlT_E_NS1_11comp_targetILNS1_3genE4ELNS1_11target_archE910ELNS1_3gpuE8ELNS1_3repE0EEENS1_30default_config_static_selectorELNS0_4arch9wavefront6targetE0EEEvT1_
	.globl	_ZN7rocprim17ROCPRIM_400000_NS6detail17trampoline_kernelINS0_14default_configENS1_25transform_config_selectorIiLb1EEEZNS1_14transform_implILb1ES3_S5_PiS7_NS0_8identityIiEEEE10hipError_tT2_T3_mT4_P12ihipStream_tbEUlT_E_NS1_11comp_targetILNS1_3genE4ELNS1_11target_archE910ELNS1_3gpuE8ELNS1_3repE0EEENS1_30default_config_static_selectorELNS0_4arch9wavefront6targetE0EEEvT1_
	.p2align	8
	.type	_ZN7rocprim17ROCPRIM_400000_NS6detail17trampoline_kernelINS0_14default_configENS1_25transform_config_selectorIiLb1EEEZNS1_14transform_implILb1ES3_S5_PiS7_NS0_8identityIiEEEE10hipError_tT2_T3_mT4_P12ihipStream_tbEUlT_E_NS1_11comp_targetILNS1_3genE4ELNS1_11target_archE910ELNS1_3gpuE8ELNS1_3repE0EEENS1_30default_config_static_selectorELNS0_4arch9wavefront6targetE0EEEvT1_,@function
_ZN7rocprim17ROCPRIM_400000_NS6detail17trampoline_kernelINS0_14default_configENS1_25transform_config_selectorIiLb1EEEZNS1_14transform_implILb1ES3_S5_PiS7_NS0_8identityIiEEEE10hipError_tT2_T3_mT4_P12ihipStream_tbEUlT_E_NS1_11comp_targetILNS1_3genE4ELNS1_11target_archE910ELNS1_3gpuE8ELNS1_3repE0EEENS1_30default_config_static_selectorELNS0_4arch9wavefront6targetE0EEEvT1_: ; @_ZN7rocprim17ROCPRIM_400000_NS6detail17trampoline_kernelINS0_14default_configENS1_25transform_config_selectorIiLb1EEEZNS1_14transform_implILb1ES3_S5_PiS7_NS0_8identityIiEEEE10hipError_tT2_T3_mT4_P12ihipStream_tbEUlT_E_NS1_11comp_targetILNS1_3genE4ELNS1_11target_archE910ELNS1_3gpuE8ELNS1_3repE0EEENS1_30default_config_static_selectorELNS0_4arch9wavefront6targetE0EEEvT1_
; %bb.0:
	.section	.rodata,"a",@progbits
	.p2align	6, 0x0
	.amdhsa_kernel _ZN7rocprim17ROCPRIM_400000_NS6detail17trampoline_kernelINS0_14default_configENS1_25transform_config_selectorIiLb1EEEZNS1_14transform_implILb1ES3_S5_PiS7_NS0_8identityIiEEEE10hipError_tT2_T3_mT4_P12ihipStream_tbEUlT_E_NS1_11comp_targetILNS1_3genE4ELNS1_11target_archE910ELNS1_3gpuE8ELNS1_3repE0EEENS1_30default_config_static_selectorELNS0_4arch9wavefront6targetE0EEEvT1_
		.amdhsa_group_segment_fixed_size 0
		.amdhsa_private_segment_fixed_size 0
		.amdhsa_kernarg_size 40
		.amdhsa_user_sgpr_count 15
		.amdhsa_user_sgpr_dispatch_ptr 0
		.amdhsa_user_sgpr_queue_ptr 0
		.amdhsa_user_sgpr_kernarg_segment_ptr 1
		.amdhsa_user_sgpr_dispatch_id 0
		.amdhsa_user_sgpr_private_segment_size 0
		.amdhsa_wavefront_size32 1
		.amdhsa_uses_dynamic_stack 0
		.amdhsa_enable_private_segment 0
		.amdhsa_system_sgpr_workgroup_id_x 1
		.amdhsa_system_sgpr_workgroup_id_y 0
		.amdhsa_system_sgpr_workgroup_id_z 0
		.amdhsa_system_sgpr_workgroup_info 0
		.amdhsa_system_vgpr_workitem_id 0
		.amdhsa_next_free_vgpr 1
		.amdhsa_next_free_sgpr 1
		.amdhsa_reserve_vcc 0
		.amdhsa_float_round_mode_32 0
		.amdhsa_float_round_mode_16_64 0
		.amdhsa_float_denorm_mode_32 3
		.amdhsa_float_denorm_mode_16_64 3
		.amdhsa_dx10_clamp 1
		.amdhsa_ieee_mode 1
		.amdhsa_fp16_overflow 0
		.amdhsa_workgroup_processor_mode 1
		.amdhsa_memory_ordered 1
		.amdhsa_forward_progress 0
		.amdhsa_shared_vgpr_count 0
		.amdhsa_exception_fp_ieee_invalid_op 0
		.amdhsa_exception_fp_denorm_src 0
		.amdhsa_exception_fp_ieee_div_zero 0
		.amdhsa_exception_fp_ieee_overflow 0
		.amdhsa_exception_fp_ieee_underflow 0
		.amdhsa_exception_fp_ieee_inexact 0
		.amdhsa_exception_int_div_zero 0
	.end_amdhsa_kernel
	.section	.text._ZN7rocprim17ROCPRIM_400000_NS6detail17trampoline_kernelINS0_14default_configENS1_25transform_config_selectorIiLb1EEEZNS1_14transform_implILb1ES3_S5_PiS7_NS0_8identityIiEEEE10hipError_tT2_T3_mT4_P12ihipStream_tbEUlT_E_NS1_11comp_targetILNS1_3genE4ELNS1_11target_archE910ELNS1_3gpuE8ELNS1_3repE0EEENS1_30default_config_static_selectorELNS0_4arch9wavefront6targetE0EEEvT1_,"axG",@progbits,_ZN7rocprim17ROCPRIM_400000_NS6detail17trampoline_kernelINS0_14default_configENS1_25transform_config_selectorIiLb1EEEZNS1_14transform_implILb1ES3_S5_PiS7_NS0_8identityIiEEEE10hipError_tT2_T3_mT4_P12ihipStream_tbEUlT_E_NS1_11comp_targetILNS1_3genE4ELNS1_11target_archE910ELNS1_3gpuE8ELNS1_3repE0EEENS1_30default_config_static_selectorELNS0_4arch9wavefront6targetE0EEEvT1_,comdat
.Lfunc_end15:
	.size	_ZN7rocprim17ROCPRIM_400000_NS6detail17trampoline_kernelINS0_14default_configENS1_25transform_config_selectorIiLb1EEEZNS1_14transform_implILb1ES3_S5_PiS7_NS0_8identityIiEEEE10hipError_tT2_T3_mT4_P12ihipStream_tbEUlT_E_NS1_11comp_targetILNS1_3genE4ELNS1_11target_archE910ELNS1_3gpuE8ELNS1_3repE0EEENS1_30default_config_static_selectorELNS0_4arch9wavefront6targetE0EEEvT1_, .Lfunc_end15-_ZN7rocprim17ROCPRIM_400000_NS6detail17trampoline_kernelINS0_14default_configENS1_25transform_config_selectorIiLb1EEEZNS1_14transform_implILb1ES3_S5_PiS7_NS0_8identityIiEEEE10hipError_tT2_T3_mT4_P12ihipStream_tbEUlT_E_NS1_11comp_targetILNS1_3genE4ELNS1_11target_archE910ELNS1_3gpuE8ELNS1_3repE0EEENS1_30default_config_static_selectorELNS0_4arch9wavefront6targetE0EEEvT1_
                                        ; -- End function
	.section	.AMDGPU.csdata,"",@progbits
; Kernel info:
; codeLenInByte = 0
; NumSgprs: 0
; NumVgprs: 0
; ScratchSize: 0
; MemoryBound: 0
; FloatMode: 240
; IeeeMode: 1
; LDSByteSize: 0 bytes/workgroup (compile time only)
; SGPRBlocks: 0
; VGPRBlocks: 0
; NumSGPRsForWavesPerEU: 1
; NumVGPRsForWavesPerEU: 1
; Occupancy: 16
; WaveLimiterHint : 0
; COMPUTE_PGM_RSRC2:SCRATCH_EN: 0
; COMPUTE_PGM_RSRC2:USER_SGPR: 15
; COMPUTE_PGM_RSRC2:TRAP_HANDLER: 0
; COMPUTE_PGM_RSRC2:TGID_X_EN: 1
; COMPUTE_PGM_RSRC2:TGID_Y_EN: 0
; COMPUTE_PGM_RSRC2:TGID_Z_EN: 0
; COMPUTE_PGM_RSRC2:TIDIG_COMP_CNT: 0
	.section	.text._ZN7rocprim17ROCPRIM_400000_NS6detail17trampoline_kernelINS0_14default_configENS1_25transform_config_selectorIiLb1EEEZNS1_14transform_implILb1ES3_S5_PiS7_NS0_8identityIiEEEE10hipError_tT2_T3_mT4_P12ihipStream_tbEUlT_E_NS1_11comp_targetILNS1_3genE3ELNS1_11target_archE908ELNS1_3gpuE7ELNS1_3repE0EEENS1_30default_config_static_selectorELNS0_4arch9wavefront6targetE0EEEvT1_,"axG",@progbits,_ZN7rocprim17ROCPRIM_400000_NS6detail17trampoline_kernelINS0_14default_configENS1_25transform_config_selectorIiLb1EEEZNS1_14transform_implILb1ES3_S5_PiS7_NS0_8identityIiEEEE10hipError_tT2_T3_mT4_P12ihipStream_tbEUlT_E_NS1_11comp_targetILNS1_3genE3ELNS1_11target_archE908ELNS1_3gpuE7ELNS1_3repE0EEENS1_30default_config_static_selectorELNS0_4arch9wavefront6targetE0EEEvT1_,comdat
	.protected	_ZN7rocprim17ROCPRIM_400000_NS6detail17trampoline_kernelINS0_14default_configENS1_25transform_config_selectorIiLb1EEEZNS1_14transform_implILb1ES3_S5_PiS7_NS0_8identityIiEEEE10hipError_tT2_T3_mT4_P12ihipStream_tbEUlT_E_NS1_11comp_targetILNS1_3genE3ELNS1_11target_archE908ELNS1_3gpuE7ELNS1_3repE0EEENS1_30default_config_static_selectorELNS0_4arch9wavefront6targetE0EEEvT1_ ; -- Begin function _ZN7rocprim17ROCPRIM_400000_NS6detail17trampoline_kernelINS0_14default_configENS1_25transform_config_selectorIiLb1EEEZNS1_14transform_implILb1ES3_S5_PiS7_NS0_8identityIiEEEE10hipError_tT2_T3_mT4_P12ihipStream_tbEUlT_E_NS1_11comp_targetILNS1_3genE3ELNS1_11target_archE908ELNS1_3gpuE7ELNS1_3repE0EEENS1_30default_config_static_selectorELNS0_4arch9wavefront6targetE0EEEvT1_
	.globl	_ZN7rocprim17ROCPRIM_400000_NS6detail17trampoline_kernelINS0_14default_configENS1_25transform_config_selectorIiLb1EEEZNS1_14transform_implILb1ES3_S5_PiS7_NS0_8identityIiEEEE10hipError_tT2_T3_mT4_P12ihipStream_tbEUlT_E_NS1_11comp_targetILNS1_3genE3ELNS1_11target_archE908ELNS1_3gpuE7ELNS1_3repE0EEENS1_30default_config_static_selectorELNS0_4arch9wavefront6targetE0EEEvT1_
	.p2align	8
	.type	_ZN7rocprim17ROCPRIM_400000_NS6detail17trampoline_kernelINS0_14default_configENS1_25transform_config_selectorIiLb1EEEZNS1_14transform_implILb1ES3_S5_PiS7_NS0_8identityIiEEEE10hipError_tT2_T3_mT4_P12ihipStream_tbEUlT_E_NS1_11comp_targetILNS1_3genE3ELNS1_11target_archE908ELNS1_3gpuE7ELNS1_3repE0EEENS1_30default_config_static_selectorELNS0_4arch9wavefront6targetE0EEEvT1_,@function
_ZN7rocprim17ROCPRIM_400000_NS6detail17trampoline_kernelINS0_14default_configENS1_25transform_config_selectorIiLb1EEEZNS1_14transform_implILb1ES3_S5_PiS7_NS0_8identityIiEEEE10hipError_tT2_T3_mT4_P12ihipStream_tbEUlT_E_NS1_11comp_targetILNS1_3genE3ELNS1_11target_archE908ELNS1_3gpuE7ELNS1_3repE0EEENS1_30default_config_static_selectorELNS0_4arch9wavefront6targetE0EEEvT1_: ; @_ZN7rocprim17ROCPRIM_400000_NS6detail17trampoline_kernelINS0_14default_configENS1_25transform_config_selectorIiLb1EEEZNS1_14transform_implILb1ES3_S5_PiS7_NS0_8identityIiEEEE10hipError_tT2_T3_mT4_P12ihipStream_tbEUlT_E_NS1_11comp_targetILNS1_3genE3ELNS1_11target_archE908ELNS1_3gpuE7ELNS1_3repE0EEENS1_30default_config_static_selectorELNS0_4arch9wavefront6targetE0EEEvT1_
; %bb.0:
	.section	.rodata,"a",@progbits
	.p2align	6, 0x0
	.amdhsa_kernel _ZN7rocprim17ROCPRIM_400000_NS6detail17trampoline_kernelINS0_14default_configENS1_25transform_config_selectorIiLb1EEEZNS1_14transform_implILb1ES3_S5_PiS7_NS0_8identityIiEEEE10hipError_tT2_T3_mT4_P12ihipStream_tbEUlT_E_NS1_11comp_targetILNS1_3genE3ELNS1_11target_archE908ELNS1_3gpuE7ELNS1_3repE0EEENS1_30default_config_static_selectorELNS0_4arch9wavefront6targetE0EEEvT1_
		.amdhsa_group_segment_fixed_size 0
		.amdhsa_private_segment_fixed_size 0
		.amdhsa_kernarg_size 40
		.amdhsa_user_sgpr_count 15
		.amdhsa_user_sgpr_dispatch_ptr 0
		.amdhsa_user_sgpr_queue_ptr 0
		.amdhsa_user_sgpr_kernarg_segment_ptr 1
		.amdhsa_user_sgpr_dispatch_id 0
		.amdhsa_user_sgpr_private_segment_size 0
		.amdhsa_wavefront_size32 1
		.amdhsa_uses_dynamic_stack 0
		.amdhsa_enable_private_segment 0
		.amdhsa_system_sgpr_workgroup_id_x 1
		.amdhsa_system_sgpr_workgroup_id_y 0
		.amdhsa_system_sgpr_workgroup_id_z 0
		.amdhsa_system_sgpr_workgroup_info 0
		.amdhsa_system_vgpr_workitem_id 0
		.amdhsa_next_free_vgpr 1
		.amdhsa_next_free_sgpr 1
		.amdhsa_reserve_vcc 0
		.amdhsa_float_round_mode_32 0
		.amdhsa_float_round_mode_16_64 0
		.amdhsa_float_denorm_mode_32 3
		.amdhsa_float_denorm_mode_16_64 3
		.amdhsa_dx10_clamp 1
		.amdhsa_ieee_mode 1
		.amdhsa_fp16_overflow 0
		.amdhsa_workgroup_processor_mode 1
		.amdhsa_memory_ordered 1
		.amdhsa_forward_progress 0
		.amdhsa_shared_vgpr_count 0
		.amdhsa_exception_fp_ieee_invalid_op 0
		.amdhsa_exception_fp_denorm_src 0
		.amdhsa_exception_fp_ieee_div_zero 0
		.amdhsa_exception_fp_ieee_overflow 0
		.amdhsa_exception_fp_ieee_underflow 0
		.amdhsa_exception_fp_ieee_inexact 0
		.amdhsa_exception_int_div_zero 0
	.end_amdhsa_kernel
	.section	.text._ZN7rocprim17ROCPRIM_400000_NS6detail17trampoline_kernelINS0_14default_configENS1_25transform_config_selectorIiLb1EEEZNS1_14transform_implILb1ES3_S5_PiS7_NS0_8identityIiEEEE10hipError_tT2_T3_mT4_P12ihipStream_tbEUlT_E_NS1_11comp_targetILNS1_3genE3ELNS1_11target_archE908ELNS1_3gpuE7ELNS1_3repE0EEENS1_30default_config_static_selectorELNS0_4arch9wavefront6targetE0EEEvT1_,"axG",@progbits,_ZN7rocprim17ROCPRIM_400000_NS6detail17trampoline_kernelINS0_14default_configENS1_25transform_config_selectorIiLb1EEEZNS1_14transform_implILb1ES3_S5_PiS7_NS0_8identityIiEEEE10hipError_tT2_T3_mT4_P12ihipStream_tbEUlT_E_NS1_11comp_targetILNS1_3genE3ELNS1_11target_archE908ELNS1_3gpuE7ELNS1_3repE0EEENS1_30default_config_static_selectorELNS0_4arch9wavefront6targetE0EEEvT1_,comdat
.Lfunc_end16:
	.size	_ZN7rocprim17ROCPRIM_400000_NS6detail17trampoline_kernelINS0_14default_configENS1_25transform_config_selectorIiLb1EEEZNS1_14transform_implILb1ES3_S5_PiS7_NS0_8identityIiEEEE10hipError_tT2_T3_mT4_P12ihipStream_tbEUlT_E_NS1_11comp_targetILNS1_3genE3ELNS1_11target_archE908ELNS1_3gpuE7ELNS1_3repE0EEENS1_30default_config_static_selectorELNS0_4arch9wavefront6targetE0EEEvT1_, .Lfunc_end16-_ZN7rocprim17ROCPRIM_400000_NS6detail17trampoline_kernelINS0_14default_configENS1_25transform_config_selectorIiLb1EEEZNS1_14transform_implILb1ES3_S5_PiS7_NS0_8identityIiEEEE10hipError_tT2_T3_mT4_P12ihipStream_tbEUlT_E_NS1_11comp_targetILNS1_3genE3ELNS1_11target_archE908ELNS1_3gpuE7ELNS1_3repE0EEENS1_30default_config_static_selectorELNS0_4arch9wavefront6targetE0EEEvT1_
                                        ; -- End function
	.section	.AMDGPU.csdata,"",@progbits
; Kernel info:
; codeLenInByte = 0
; NumSgprs: 0
; NumVgprs: 0
; ScratchSize: 0
; MemoryBound: 0
; FloatMode: 240
; IeeeMode: 1
; LDSByteSize: 0 bytes/workgroup (compile time only)
; SGPRBlocks: 0
; VGPRBlocks: 0
; NumSGPRsForWavesPerEU: 1
; NumVGPRsForWavesPerEU: 1
; Occupancy: 16
; WaveLimiterHint : 0
; COMPUTE_PGM_RSRC2:SCRATCH_EN: 0
; COMPUTE_PGM_RSRC2:USER_SGPR: 15
; COMPUTE_PGM_RSRC2:TRAP_HANDLER: 0
; COMPUTE_PGM_RSRC2:TGID_X_EN: 1
; COMPUTE_PGM_RSRC2:TGID_Y_EN: 0
; COMPUTE_PGM_RSRC2:TGID_Z_EN: 0
; COMPUTE_PGM_RSRC2:TIDIG_COMP_CNT: 0
	.section	.text._ZN7rocprim17ROCPRIM_400000_NS6detail17trampoline_kernelINS0_14default_configENS1_25transform_config_selectorIiLb1EEEZNS1_14transform_implILb1ES3_S5_PiS7_NS0_8identityIiEEEE10hipError_tT2_T3_mT4_P12ihipStream_tbEUlT_E_NS1_11comp_targetILNS1_3genE2ELNS1_11target_archE906ELNS1_3gpuE6ELNS1_3repE0EEENS1_30default_config_static_selectorELNS0_4arch9wavefront6targetE0EEEvT1_,"axG",@progbits,_ZN7rocprim17ROCPRIM_400000_NS6detail17trampoline_kernelINS0_14default_configENS1_25transform_config_selectorIiLb1EEEZNS1_14transform_implILb1ES3_S5_PiS7_NS0_8identityIiEEEE10hipError_tT2_T3_mT4_P12ihipStream_tbEUlT_E_NS1_11comp_targetILNS1_3genE2ELNS1_11target_archE906ELNS1_3gpuE6ELNS1_3repE0EEENS1_30default_config_static_selectorELNS0_4arch9wavefront6targetE0EEEvT1_,comdat
	.protected	_ZN7rocprim17ROCPRIM_400000_NS6detail17trampoline_kernelINS0_14default_configENS1_25transform_config_selectorIiLb1EEEZNS1_14transform_implILb1ES3_S5_PiS7_NS0_8identityIiEEEE10hipError_tT2_T3_mT4_P12ihipStream_tbEUlT_E_NS1_11comp_targetILNS1_3genE2ELNS1_11target_archE906ELNS1_3gpuE6ELNS1_3repE0EEENS1_30default_config_static_selectorELNS0_4arch9wavefront6targetE0EEEvT1_ ; -- Begin function _ZN7rocprim17ROCPRIM_400000_NS6detail17trampoline_kernelINS0_14default_configENS1_25transform_config_selectorIiLb1EEEZNS1_14transform_implILb1ES3_S5_PiS7_NS0_8identityIiEEEE10hipError_tT2_T3_mT4_P12ihipStream_tbEUlT_E_NS1_11comp_targetILNS1_3genE2ELNS1_11target_archE906ELNS1_3gpuE6ELNS1_3repE0EEENS1_30default_config_static_selectorELNS0_4arch9wavefront6targetE0EEEvT1_
	.globl	_ZN7rocprim17ROCPRIM_400000_NS6detail17trampoline_kernelINS0_14default_configENS1_25transform_config_selectorIiLb1EEEZNS1_14transform_implILb1ES3_S5_PiS7_NS0_8identityIiEEEE10hipError_tT2_T3_mT4_P12ihipStream_tbEUlT_E_NS1_11comp_targetILNS1_3genE2ELNS1_11target_archE906ELNS1_3gpuE6ELNS1_3repE0EEENS1_30default_config_static_selectorELNS0_4arch9wavefront6targetE0EEEvT1_
	.p2align	8
	.type	_ZN7rocprim17ROCPRIM_400000_NS6detail17trampoline_kernelINS0_14default_configENS1_25transform_config_selectorIiLb1EEEZNS1_14transform_implILb1ES3_S5_PiS7_NS0_8identityIiEEEE10hipError_tT2_T3_mT4_P12ihipStream_tbEUlT_E_NS1_11comp_targetILNS1_3genE2ELNS1_11target_archE906ELNS1_3gpuE6ELNS1_3repE0EEENS1_30default_config_static_selectorELNS0_4arch9wavefront6targetE0EEEvT1_,@function
_ZN7rocprim17ROCPRIM_400000_NS6detail17trampoline_kernelINS0_14default_configENS1_25transform_config_selectorIiLb1EEEZNS1_14transform_implILb1ES3_S5_PiS7_NS0_8identityIiEEEE10hipError_tT2_T3_mT4_P12ihipStream_tbEUlT_E_NS1_11comp_targetILNS1_3genE2ELNS1_11target_archE906ELNS1_3gpuE6ELNS1_3repE0EEENS1_30default_config_static_selectorELNS0_4arch9wavefront6targetE0EEEvT1_: ; @_ZN7rocprim17ROCPRIM_400000_NS6detail17trampoline_kernelINS0_14default_configENS1_25transform_config_selectorIiLb1EEEZNS1_14transform_implILb1ES3_S5_PiS7_NS0_8identityIiEEEE10hipError_tT2_T3_mT4_P12ihipStream_tbEUlT_E_NS1_11comp_targetILNS1_3genE2ELNS1_11target_archE906ELNS1_3gpuE6ELNS1_3repE0EEENS1_30default_config_static_selectorELNS0_4arch9wavefront6targetE0EEEvT1_
; %bb.0:
	.section	.rodata,"a",@progbits
	.p2align	6, 0x0
	.amdhsa_kernel _ZN7rocprim17ROCPRIM_400000_NS6detail17trampoline_kernelINS0_14default_configENS1_25transform_config_selectorIiLb1EEEZNS1_14transform_implILb1ES3_S5_PiS7_NS0_8identityIiEEEE10hipError_tT2_T3_mT4_P12ihipStream_tbEUlT_E_NS1_11comp_targetILNS1_3genE2ELNS1_11target_archE906ELNS1_3gpuE6ELNS1_3repE0EEENS1_30default_config_static_selectorELNS0_4arch9wavefront6targetE0EEEvT1_
		.amdhsa_group_segment_fixed_size 0
		.amdhsa_private_segment_fixed_size 0
		.amdhsa_kernarg_size 40
		.amdhsa_user_sgpr_count 15
		.amdhsa_user_sgpr_dispatch_ptr 0
		.amdhsa_user_sgpr_queue_ptr 0
		.amdhsa_user_sgpr_kernarg_segment_ptr 1
		.amdhsa_user_sgpr_dispatch_id 0
		.amdhsa_user_sgpr_private_segment_size 0
		.amdhsa_wavefront_size32 1
		.amdhsa_uses_dynamic_stack 0
		.amdhsa_enable_private_segment 0
		.amdhsa_system_sgpr_workgroup_id_x 1
		.amdhsa_system_sgpr_workgroup_id_y 0
		.amdhsa_system_sgpr_workgroup_id_z 0
		.amdhsa_system_sgpr_workgroup_info 0
		.amdhsa_system_vgpr_workitem_id 0
		.amdhsa_next_free_vgpr 1
		.amdhsa_next_free_sgpr 1
		.amdhsa_reserve_vcc 0
		.amdhsa_float_round_mode_32 0
		.amdhsa_float_round_mode_16_64 0
		.amdhsa_float_denorm_mode_32 3
		.amdhsa_float_denorm_mode_16_64 3
		.amdhsa_dx10_clamp 1
		.amdhsa_ieee_mode 1
		.amdhsa_fp16_overflow 0
		.amdhsa_workgroup_processor_mode 1
		.amdhsa_memory_ordered 1
		.amdhsa_forward_progress 0
		.amdhsa_shared_vgpr_count 0
		.amdhsa_exception_fp_ieee_invalid_op 0
		.amdhsa_exception_fp_denorm_src 0
		.amdhsa_exception_fp_ieee_div_zero 0
		.amdhsa_exception_fp_ieee_overflow 0
		.amdhsa_exception_fp_ieee_underflow 0
		.amdhsa_exception_fp_ieee_inexact 0
		.amdhsa_exception_int_div_zero 0
	.end_amdhsa_kernel
	.section	.text._ZN7rocprim17ROCPRIM_400000_NS6detail17trampoline_kernelINS0_14default_configENS1_25transform_config_selectorIiLb1EEEZNS1_14transform_implILb1ES3_S5_PiS7_NS0_8identityIiEEEE10hipError_tT2_T3_mT4_P12ihipStream_tbEUlT_E_NS1_11comp_targetILNS1_3genE2ELNS1_11target_archE906ELNS1_3gpuE6ELNS1_3repE0EEENS1_30default_config_static_selectorELNS0_4arch9wavefront6targetE0EEEvT1_,"axG",@progbits,_ZN7rocprim17ROCPRIM_400000_NS6detail17trampoline_kernelINS0_14default_configENS1_25transform_config_selectorIiLb1EEEZNS1_14transform_implILb1ES3_S5_PiS7_NS0_8identityIiEEEE10hipError_tT2_T3_mT4_P12ihipStream_tbEUlT_E_NS1_11comp_targetILNS1_3genE2ELNS1_11target_archE906ELNS1_3gpuE6ELNS1_3repE0EEENS1_30default_config_static_selectorELNS0_4arch9wavefront6targetE0EEEvT1_,comdat
.Lfunc_end17:
	.size	_ZN7rocprim17ROCPRIM_400000_NS6detail17trampoline_kernelINS0_14default_configENS1_25transform_config_selectorIiLb1EEEZNS1_14transform_implILb1ES3_S5_PiS7_NS0_8identityIiEEEE10hipError_tT2_T3_mT4_P12ihipStream_tbEUlT_E_NS1_11comp_targetILNS1_3genE2ELNS1_11target_archE906ELNS1_3gpuE6ELNS1_3repE0EEENS1_30default_config_static_selectorELNS0_4arch9wavefront6targetE0EEEvT1_, .Lfunc_end17-_ZN7rocprim17ROCPRIM_400000_NS6detail17trampoline_kernelINS0_14default_configENS1_25transform_config_selectorIiLb1EEEZNS1_14transform_implILb1ES3_S5_PiS7_NS0_8identityIiEEEE10hipError_tT2_T3_mT4_P12ihipStream_tbEUlT_E_NS1_11comp_targetILNS1_3genE2ELNS1_11target_archE906ELNS1_3gpuE6ELNS1_3repE0EEENS1_30default_config_static_selectorELNS0_4arch9wavefront6targetE0EEEvT1_
                                        ; -- End function
	.section	.AMDGPU.csdata,"",@progbits
; Kernel info:
; codeLenInByte = 0
; NumSgprs: 0
; NumVgprs: 0
; ScratchSize: 0
; MemoryBound: 0
; FloatMode: 240
; IeeeMode: 1
; LDSByteSize: 0 bytes/workgroup (compile time only)
; SGPRBlocks: 0
; VGPRBlocks: 0
; NumSGPRsForWavesPerEU: 1
; NumVGPRsForWavesPerEU: 1
; Occupancy: 16
; WaveLimiterHint : 0
; COMPUTE_PGM_RSRC2:SCRATCH_EN: 0
; COMPUTE_PGM_RSRC2:USER_SGPR: 15
; COMPUTE_PGM_RSRC2:TRAP_HANDLER: 0
; COMPUTE_PGM_RSRC2:TGID_X_EN: 1
; COMPUTE_PGM_RSRC2:TGID_Y_EN: 0
; COMPUTE_PGM_RSRC2:TGID_Z_EN: 0
; COMPUTE_PGM_RSRC2:TIDIG_COMP_CNT: 0
	.section	.text._ZN7rocprim17ROCPRIM_400000_NS6detail17trampoline_kernelINS0_14default_configENS1_25transform_config_selectorIiLb1EEEZNS1_14transform_implILb1ES3_S5_PiS7_NS0_8identityIiEEEE10hipError_tT2_T3_mT4_P12ihipStream_tbEUlT_E_NS1_11comp_targetILNS1_3genE9ELNS1_11target_archE1100ELNS1_3gpuE3ELNS1_3repE0EEENS1_30default_config_static_selectorELNS0_4arch9wavefront6targetE0EEEvT1_,"axG",@progbits,_ZN7rocprim17ROCPRIM_400000_NS6detail17trampoline_kernelINS0_14default_configENS1_25transform_config_selectorIiLb1EEEZNS1_14transform_implILb1ES3_S5_PiS7_NS0_8identityIiEEEE10hipError_tT2_T3_mT4_P12ihipStream_tbEUlT_E_NS1_11comp_targetILNS1_3genE9ELNS1_11target_archE1100ELNS1_3gpuE3ELNS1_3repE0EEENS1_30default_config_static_selectorELNS0_4arch9wavefront6targetE0EEEvT1_,comdat
	.protected	_ZN7rocprim17ROCPRIM_400000_NS6detail17trampoline_kernelINS0_14default_configENS1_25transform_config_selectorIiLb1EEEZNS1_14transform_implILb1ES3_S5_PiS7_NS0_8identityIiEEEE10hipError_tT2_T3_mT4_P12ihipStream_tbEUlT_E_NS1_11comp_targetILNS1_3genE9ELNS1_11target_archE1100ELNS1_3gpuE3ELNS1_3repE0EEENS1_30default_config_static_selectorELNS0_4arch9wavefront6targetE0EEEvT1_ ; -- Begin function _ZN7rocprim17ROCPRIM_400000_NS6detail17trampoline_kernelINS0_14default_configENS1_25transform_config_selectorIiLb1EEEZNS1_14transform_implILb1ES3_S5_PiS7_NS0_8identityIiEEEE10hipError_tT2_T3_mT4_P12ihipStream_tbEUlT_E_NS1_11comp_targetILNS1_3genE9ELNS1_11target_archE1100ELNS1_3gpuE3ELNS1_3repE0EEENS1_30default_config_static_selectorELNS0_4arch9wavefront6targetE0EEEvT1_
	.globl	_ZN7rocprim17ROCPRIM_400000_NS6detail17trampoline_kernelINS0_14default_configENS1_25transform_config_selectorIiLb1EEEZNS1_14transform_implILb1ES3_S5_PiS7_NS0_8identityIiEEEE10hipError_tT2_T3_mT4_P12ihipStream_tbEUlT_E_NS1_11comp_targetILNS1_3genE9ELNS1_11target_archE1100ELNS1_3gpuE3ELNS1_3repE0EEENS1_30default_config_static_selectorELNS0_4arch9wavefront6targetE0EEEvT1_
	.p2align	8
	.type	_ZN7rocprim17ROCPRIM_400000_NS6detail17trampoline_kernelINS0_14default_configENS1_25transform_config_selectorIiLb1EEEZNS1_14transform_implILb1ES3_S5_PiS7_NS0_8identityIiEEEE10hipError_tT2_T3_mT4_P12ihipStream_tbEUlT_E_NS1_11comp_targetILNS1_3genE9ELNS1_11target_archE1100ELNS1_3gpuE3ELNS1_3repE0EEENS1_30default_config_static_selectorELNS0_4arch9wavefront6targetE0EEEvT1_,@function
_ZN7rocprim17ROCPRIM_400000_NS6detail17trampoline_kernelINS0_14default_configENS1_25transform_config_selectorIiLb1EEEZNS1_14transform_implILb1ES3_S5_PiS7_NS0_8identityIiEEEE10hipError_tT2_T3_mT4_P12ihipStream_tbEUlT_E_NS1_11comp_targetILNS1_3genE9ELNS1_11target_archE1100ELNS1_3gpuE3ELNS1_3repE0EEENS1_30default_config_static_selectorELNS0_4arch9wavefront6targetE0EEEvT1_: ; @_ZN7rocprim17ROCPRIM_400000_NS6detail17trampoline_kernelINS0_14default_configENS1_25transform_config_selectorIiLb1EEEZNS1_14transform_implILb1ES3_S5_PiS7_NS0_8identityIiEEEE10hipError_tT2_T3_mT4_P12ihipStream_tbEUlT_E_NS1_11comp_targetILNS1_3genE9ELNS1_11target_archE1100ELNS1_3gpuE3ELNS1_3repE0EEENS1_30default_config_static_selectorELNS0_4arch9wavefront6targetE0EEEvT1_
; %bb.0:
	s_load_b256 s[4:11], s[0:1], 0x0
	s_waitcnt lgkmcnt(0)
	s_load_b32 s9, s[0:1], 0x28
	s_lshl_b64 s[0:1], s[6:7], 2
	s_delay_alu instid0(SALU_CYCLE_1)
	s_add_u32 s4, s4, s0
	s_addc_u32 s5, s5, s1
	s_add_u32 s6, s10, s0
	s_addc_u32 s7, s11, s1
	s_lshl_b32 s0, s15, 11
	s_mov_b32 s1, 0
	s_waitcnt lgkmcnt(0)
	s_add_i32 s9, s9, -1
	s_lshl_b64 s[2:3], s[0:1], 2
	s_mov_b32 s1, -1
	s_add_u32 s4, s4, s2
	s_addc_u32 s5, s5, s3
	s_cmp_lg_u32 s15, s9
	s_cbranch_scc0 .LBB18_2
; %bb.1:
	v_lshlrev_b32_e32 v3, 3, v0
	s_add_u32 s10, s6, s2
	s_addc_u32 s11, s7, s3
	s_mov_b32 s1, 0
	global_load_b64 v[1:2], v3, s[4:5] slc dlc
	s_waitcnt vmcnt(0)
	global_store_b64 v3, v[1:2], s[10:11]
.LBB18_2:
	s_and_not1_b32 vcc_lo, exec_lo, s1
	s_cbranch_vccnz .LBB18_11
; %bb.3:
	s_sub_i32 s0, s8, s0
	v_lshlrev_b32_e32 v3, 2, v0
	v_cmp_gt_u32_e32 vcc_lo, s0, v0
                                        ; implicit-def: $vgpr1_vgpr2
	s_and_saveexec_b32 s1, vcc_lo
	s_cbranch_execz .LBB18_5
; %bb.4:
	global_load_b32 v1, v3, s[4:5]
.LBB18_5:
	s_or_b32 exec_lo, exec_lo, s1
	v_or_b32_e32 v0, 0x400, v0
	s_delay_alu instid0(VALU_DEP_1) | instskip(NEXT) | instid1(VALU_DEP_1)
	v_cmp_gt_u32_e64 s0, s0, v0
	s_and_saveexec_b32 s1, s0
	s_cbranch_execz .LBB18_7
; %bb.6:
	v_lshlrev_b32_e32 v0, 2, v0
	global_load_b32 v2, v0, s[4:5]
.LBB18_7:
	s_or_b32 exec_lo, exec_lo, s1
	s_add_u32 s1, s6, s2
	s_addc_u32 s2, s7, s3
	v_add_co_u32 v3, s1, s1, v3
	s_delay_alu instid0(VALU_DEP_1)
	v_add_co_ci_u32_e64 v4, null, s2, 0, s1
	s_and_saveexec_b32 s1, vcc_lo
	s_cbranch_execz .LBB18_9
; %bb.8:
	s_waitcnt vmcnt(0)
	global_store_b32 v[3:4], v1, off
.LBB18_9:
	s_or_b32 exec_lo, exec_lo, s1
	s_and_saveexec_b32 s1, s0
	s_cbranch_execz .LBB18_11
; %bb.10:
	v_add_co_u32 v0, vcc_lo, 0x1000, v3
	s_waitcnt vmcnt(0)
	v_add_co_ci_u32_e32 v1, vcc_lo, 0, v4, vcc_lo
	global_store_b32 v[0:1], v2, off
.LBB18_11:
	s_nop 0
	s_sendmsg sendmsg(MSG_DEALLOC_VGPRS)
	s_endpgm
	.section	.rodata,"a",@progbits
	.p2align	6, 0x0
	.amdhsa_kernel _ZN7rocprim17ROCPRIM_400000_NS6detail17trampoline_kernelINS0_14default_configENS1_25transform_config_selectorIiLb1EEEZNS1_14transform_implILb1ES3_S5_PiS7_NS0_8identityIiEEEE10hipError_tT2_T3_mT4_P12ihipStream_tbEUlT_E_NS1_11comp_targetILNS1_3genE9ELNS1_11target_archE1100ELNS1_3gpuE3ELNS1_3repE0EEENS1_30default_config_static_selectorELNS0_4arch9wavefront6targetE0EEEvT1_
		.amdhsa_group_segment_fixed_size 0
		.amdhsa_private_segment_fixed_size 0
		.amdhsa_kernarg_size 296
		.amdhsa_user_sgpr_count 15
		.amdhsa_user_sgpr_dispatch_ptr 0
		.amdhsa_user_sgpr_queue_ptr 0
		.amdhsa_user_sgpr_kernarg_segment_ptr 1
		.amdhsa_user_sgpr_dispatch_id 0
		.amdhsa_user_sgpr_private_segment_size 0
		.amdhsa_wavefront_size32 1
		.amdhsa_uses_dynamic_stack 0
		.amdhsa_enable_private_segment 0
		.amdhsa_system_sgpr_workgroup_id_x 1
		.amdhsa_system_sgpr_workgroup_id_y 0
		.amdhsa_system_sgpr_workgroup_id_z 0
		.amdhsa_system_sgpr_workgroup_info 0
		.amdhsa_system_vgpr_workitem_id 0
		.amdhsa_next_free_vgpr 5
		.amdhsa_next_free_sgpr 16
		.amdhsa_reserve_vcc 1
		.amdhsa_float_round_mode_32 0
		.amdhsa_float_round_mode_16_64 0
		.amdhsa_float_denorm_mode_32 3
		.amdhsa_float_denorm_mode_16_64 3
		.amdhsa_dx10_clamp 1
		.amdhsa_ieee_mode 1
		.amdhsa_fp16_overflow 0
		.amdhsa_workgroup_processor_mode 1
		.amdhsa_memory_ordered 1
		.amdhsa_forward_progress 0
		.amdhsa_shared_vgpr_count 0
		.amdhsa_exception_fp_ieee_invalid_op 0
		.amdhsa_exception_fp_denorm_src 0
		.amdhsa_exception_fp_ieee_div_zero 0
		.amdhsa_exception_fp_ieee_overflow 0
		.amdhsa_exception_fp_ieee_underflow 0
		.amdhsa_exception_fp_ieee_inexact 0
		.amdhsa_exception_int_div_zero 0
	.end_amdhsa_kernel
	.section	.text._ZN7rocprim17ROCPRIM_400000_NS6detail17trampoline_kernelINS0_14default_configENS1_25transform_config_selectorIiLb1EEEZNS1_14transform_implILb1ES3_S5_PiS7_NS0_8identityIiEEEE10hipError_tT2_T3_mT4_P12ihipStream_tbEUlT_E_NS1_11comp_targetILNS1_3genE9ELNS1_11target_archE1100ELNS1_3gpuE3ELNS1_3repE0EEENS1_30default_config_static_selectorELNS0_4arch9wavefront6targetE0EEEvT1_,"axG",@progbits,_ZN7rocprim17ROCPRIM_400000_NS6detail17trampoline_kernelINS0_14default_configENS1_25transform_config_selectorIiLb1EEEZNS1_14transform_implILb1ES3_S5_PiS7_NS0_8identityIiEEEE10hipError_tT2_T3_mT4_P12ihipStream_tbEUlT_E_NS1_11comp_targetILNS1_3genE9ELNS1_11target_archE1100ELNS1_3gpuE3ELNS1_3repE0EEENS1_30default_config_static_selectorELNS0_4arch9wavefront6targetE0EEEvT1_,comdat
.Lfunc_end18:
	.size	_ZN7rocprim17ROCPRIM_400000_NS6detail17trampoline_kernelINS0_14default_configENS1_25transform_config_selectorIiLb1EEEZNS1_14transform_implILb1ES3_S5_PiS7_NS0_8identityIiEEEE10hipError_tT2_T3_mT4_P12ihipStream_tbEUlT_E_NS1_11comp_targetILNS1_3genE9ELNS1_11target_archE1100ELNS1_3gpuE3ELNS1_3repE0EEENS1_30default_config_static_selectorELNS0_4arch9wavefront6targetE0EEEvT1_, .Lfunc_end18-_ZN7rocprim17ROCPRIM_400000_NS6detail17trampoline_kernelINS0_14default_configENS1_25transform_config_selectorIiLb1EEEZNS1_14transform_implILb1ES3_S5_PiS7_NS0_8identityIiEEEE10hipError_tT2_T3_mT4_P12ihipStream_tbEUlT_E_NS1_11comp_targetILNS1_3genE9ELNS1_11target_archE1100ELNS1_3gpuE3ELNS1_3repE0EEENS1_30default_config_static_selectorELNS0_4arch9wavefront6targetE0EEEvT1_
                                        ; -- End function
	.section	.AMDGPU.csdata,"",@progbits
; Kernel info:
; codeLenInByte = 304
; NumSgprs: 18
; NumVgprs: 5
; ScratchSize: 0
; MemoryBound: 0
; FloatMode: 240
; IeeeMode: 1
; LDSByteSize: 0 bytes/workgroup (compile time only)
; SGPRBlocks: 2
; VGPRBlocks: 0
; NumSGPRsForWavesPerEU: 18
; NumVGPRsForWavesPerEU: 5
; Occupancy: 16
; WaveLimiterHint : 0
; COMPUTE_PGM_RSRC2:SCRATCH_EN: 0
; COMPUTE_PGM_RSRC2:USER_SGPR: 15
; COMPUTE_PGM_RSRC2:TRAP_HANDLER: 0
; COMPUTE_PGM_RSRC2:TGID_X_EN: 1
; COMPUTE_PGM_RSRC2:TGID_Y_EN: 0
; COMPUTE_PGM_RSRC2:TGID_Z_EN: 0
; COMPUTE_PGM_RSRC2:TIDIG_COMP_CNT: 0
	.section	.text._ZN7rocprim17ROCPRIM_400000_NS6detail17trampoline_kernelINS0_14default_configENS1_25transform_config_selectorIiLb1EEEZNS1_14transform_implILb1ES3_S5_PiS7_NS0_8identityIiEEEE10hipError_tT2_T3_mT4_P12ihipStream_tbEUlT_E_NS1_11comp_targetILNS1_3genE8ELNS1_11target_archE1030ELNS1_3gpuE2ELNS1_3repE0EEENS1_30default_config_static_selectorELNS0_4arch9wavefront6targetE0EEEvT1_,"axG",@progbits,_ZN7rocprim17ROCPRIM_400000_NS6detail17trampoline_kernelINS0_14default_configENS1_25transform_config_selectorIiLb1EEEZNS1_14transform_implILb1ES3_S5_PiS7_NS0_8identityIiEEEE10hipError_tT2_T3_mT4_P12ihipStream_tbEUlT_E_NS1_11comp_targetILNS1_3genE8ELNS1_11target_archE1030ELNS1_3gpuE2ELNS1_3repE0EEENS1_30default_config_static_selectorELNS0_4arch9wavefront6targetE0EEEvT1_,comdat
	.protected	_ZN7rocprim17ROCPRIM_400000_NS6detail17trampoline_kernelINS0_14default_configENS1_25transform_config_selectorIiLb1EEEZNS1_14transform_implILb1ES3_S5_PiS7_NS0_8identityIiEEEE10hipError_tT2_T3_mT4_P12ihipStream_tbEUlT_E_NS1_11comp_targetILNS1_3genE8ELNS1_11target_archE1030ELNS1_3gpuE2ELNS1_3repE0EEENS1_30default_config_static_selectorELNS0_4arch9wavefront6targetE0EEEvT1_ ; -- Begin function _ZN7rocprim17ROCPRIM_400000_NS6detail17trampoline_kernelINS0_14default_configENS1_25transform_config_selectorIiLb1EEEZNS1_14transform_implILb1ES3_S5_PiS7_NS0_8identityIiEEEE10hipError_tT2_T3_mT4_P12ihipStream_tbEUlT_E_NS1_11comp_targetILNS1_3genE8ELNS1_11target_archE1030ELNS1_3gpuE2ELNS1_3repE0EEENS1_30default_config_static_selectorELNS0_4arch9wavefront6targetE0EEEvT1_
	.globl	_ZN7rocprim17ROCPRIM_400000_NS6detail17trampoline_kernelINS0_14default_configENS1_25transform_config_selectorIiLb1EEEZNS1_14transform_implILb1ES3_S5_PiS7_NS0_8identityIiEEEE10hipError_tT2_T3_mT4_P12ihipStream_tbEUlT_E_NS1_11comp_targetILNS1_3genE8ELNS1_11target_archE1030ELNS1_3gpuE2ELNS1_3repE0EEENS1_30default_config_static_selectorELNS0_4arch9wavefront6targetE0EEEvT1_
	.p2align	8
	.type	_ZN7rocprim17ROCPRIM_400000_NS6detail17trampoline_kernelINS0_14default_configENS1_25transform_config_selectorIiLb1EEEZNS1_14transform_implILb1ES3_S5_PiS7_NS0_8identityIiEEEE10hipError_tT2_T3_mT4_P12ihipStream_tbEUlT_E_NS1_11comp_targetILNS1_3genE8ELNS1_11target_archE1030ELNS1_3gpuE2ELNS1_3repE0EEENS1_30default_config_static_selectorELNS0_4arch9wavefront6targetE0EEEvT1_,@function
_ZN7rocprim17ROCPRIM_400000_NS6detail17trampoline_kernelINS0_14default_configENS1_25transform_config_selectorIiLb1EEEZNS1_14transform_implILb1ES3_S5_PiS7_NS0_8identityIiEEEE10hipError_tT2_T3_mT4_P12ihipStream_tbEUlT_E_NS1_11comp_targetILNS1_3genE8ELNS1_11target_archE1030ELNS1_3gpuE2ELNS1_3repE0EEENS1_30default_config_static_selectorELNS0_4arch9wavefront6targetE0EEEvT1_: ; @_ZN7rocprim17ROCPRIM_400000_NS6detail17trampoline_kernelINS0_14default_configENS1_25transform_config_selectorIiLb1EEEZNS1_14transform_implILb1ES3_S5_PiS7_NS0_8identityIiEEEE10hipError_tT2_T3_mT4_P12ihipStream_tbEUlT_E_NS1_11comp_targetILNS1_3genE8ELNS1_11target_archE1030ELNS1_3gpuE2ELNS1_3repE0EEENS1_30default_config_static_selectorELNS0_4arch9wavefront6targetE0EEEvT1_
; %bb.0:
	.section	.rodata,"a",@progbits
	.p2align	6, 0x0
	.amdhsa_kernel _ZN7rocprim17ROCPRIM_400000_NS6detail17trampoline_kernelINS0_14default_configENS1_25transform_config_selectorIiLb1EEEZNS1_14transform_implILb1ES3_S5_PiS7_NS0_8identityIiEEEE10hipError_tT2_T3_mT4_P12ihipStream_tbEUlT_E_NS1_11comp_targetILNS1_3genE8ELNS1_11target_archE1030ELNS1_3gpuE2ELNS1_3repE0EEENS1_30default_config_static_selectorELNS0_4arch9wavefront6targetE0EEEvT1_
		.amdhsa_group_segment_fixed_size 0
		.amdhsa_private_segment_fixed_size 0
		.amdhsa_kernarg_size 40
		.amdhsa_user_sgpr_count 15
		.amdhsa_user_sgpr_dispatch_ptr 0
		.amdhsa_user_sgpr_queue_ptr 0
		.amdhsa_user_sgpr_kernarg_segment_ptr 1
		.amdhsa_user_sgpr_dispatch_id 0
		.amdhsa_user_sgpr_private_segment_size 0
		.amdhsa_wavefront_size32 1
		.amdhsa_uses_dynamic_stack 0
		.amdhsa_enable_private_segment 0
		.amdhsa_system_sgpr_workgroup_id_x 1
		.amdhsa_system_sgpr_workgroup_id_y 0
		.amdhsa_system_sgpr_workgroup_id_z 0
		.amdhsa_system_sgpr_workgroup_info 0
		.amdhsa_system_vgpr_workitem_id 0
		.amdhsa_next_free_vgpr 1
		.amdhsa_next_free_sgpr 1
		.amdhsa_reserve_vcc 0
		.amdhsa_float_round_mode_32 0
		.amdhsa_float_round_mode_16_64 0
		.amdhsa_float_denorm_mode_32 3
		.amdhsa_float_denorm_mode_16_64 3
		.amdhsa_dx10_clamp 1
		.amdhsa_ieee_mode 1
		.amdhsa_fp16_overflow 0
		.amdhsa_workgroup_processor_mode 1
		.amdhsa_memory_ordered 1
		.amdhsa_forward_progress 0
		.amdhsa_shared_vgpr_count 0
		.amdhsa_exception_fp_ieee_invalid_op 0
		.amdhsa_exception_fp_denorm_src 0
		.amdhsa_exception_fp_ieee_div_zero 0
		.amdhsa_exception_fp_ieee_overflow 0
		.amdhsa_exception_fp_ieee_underflow 0
		.amdhsa_exception_fp_ieee_inexact 0
		.amdhsa_exception_int_div_zero 0
	.end_amdhsa_kernel
	.section	.text._ZN7rocprim17ROCPRIM_400000_NS6detail17trampoline_kernelINS0_14default_configENS1_25transform_config_selectorIiLb1EEEZNS1_14transform_implILb1ES3_S5_PiS7_NS0_8identityIiEEEE10hipError_tT2_T3_mT4_P12ihipStream_tbEUlT_E_NS1_11comp_targetILNS1_3genE8ELNS1_11target_archE1030ELNS1_3gpuE2ELNS1_3repE0EEENS1_30default_config_static_selectorELNS0_4arch9wavefront6targetE0EEEvT1_,"axG",@progbits,_ZN7rocprim17ROCPRIM_400000_NS6detail17trampoline_kernelINS0_14default_configENS1_25transform_config_selectorIiLb1EEEZNS1_14transform_implILb1ES3_S5_PiS7_NS0_8identityIiEEEE10hipError_tT2_T3_mT4_P12ihipStream_tbEUlT_E_NS1_11comp_targetILNS1_3genE8ELNS1_11target_archE1030ELNS1_3gpuE2ELNS1_3repE0EEENS1_30default_config_static_selectorELNS0_4arch9wavefront6targetE0EEEvT1_,comdat
.Lfunc_end19:
	.size	_ZN7rocprim17ROCPRIM_400000_NS6detail17trampoline_kernelINS0_14default_configENS1_25transform_config_selectorIiLb1EEEZNS1_14transform_implILb1ES3_S5_PiS7_NS0_8identityIiEEEE10hipError_tT2_T3_mT4_P12ihipStream_tbEUlT_E_NS1_11comp_targetILNS1_3genE8ELNS1_11target_archE1030ELNS1_3gpuE2ELNS1_3repE0EEENS1_30default_config_static_selectorELNS0_4arch9wavefront6targetE0EEEvT1_, .Lfunc_end19-_ZN7rocprim17ROCPRIM_400000_NS6detail17trampoline_kernelINS0_14default_configENS1_25transform_config_selectorIiLb1EEEZNS1_14transform_implILb1ES3_S5_PiS7_NS0_8identityIiEEEE10hipError_tT2_T3_mT4_P12ihipStream_tbEUlT_E_NS1_11comp_targetILNS1_3genE8ELNS1_11target_archE1030ELNS1_3gpuE2ELNS1_3repE0EEENS1_30default_config_static_selectorELNS0_4arch9wavefront6targetE0EEEvT1_
                                        ; -- End function
	.section	.AMDGPU.csdata,"",@progbits
; Kernel info:
; codeLenInByte = 0
; NumSgprs: 0
; NumVgprs: 0
; ScratchSize: 0
; MemoryBound: 0
; FloatMode: 240
; IeeeMode: 1
; LDSByteSize: 0 bytes/workgroup (compile time only)
; SGPRBlocks: 0
; VGPRBlocks: 0
; NumSGPRsForWavesPerEU: 1
; NumVGPRsForWavesPerEU: 1
; Occupancy: 16
; WaveLimiterHint : 0
; COMPUTE_PGM_RSRC2:SCRATCH_EN: 0
; COMPUTE_PGM_RSRC2:USER_SGPR: 15
; COMPUTE_PGM_RSRC2:TRAP_HANDLER: 0
; COMPUTE_PGM_RSRC2:TGID_X_EN: 1
; COMPUTE_PGM_RSRC2:TGID_Y_EN: 0
; COMPUTE_PGM_RSRC2:TGID_Z_EN: 0
; COMPUTE_PGM_RSRC2:TIDIG_COMP_CNT: 0
	.section	.text._ZN7rocprim17ROCPRIM_400000_NS6detail17trampoline_kernelINS0_14default_configENS1_20scan_config_selectorIiEEZZNS1_9scan_implILNS1_25lookback_scan_determinismE0ELb0ELb0ES3_N6thrust23THRUST_200600_302600_NS6detail15normal_iteratorINS9_10device_ptrIiEEEESE_iNS9_4plusIvEEiEEDaPvRmT3_T4_T5_mT6_P12ihipStream_tbENKUlT_T0_E_clISt17integral_constantIbLb0EESU_EEDaSP_SQ_EUlSP_E0_NS1_11comp_targetILNS1_3genE0ELNS1_11target_archE4294967295ELNS1_3gpuE0ELNS1_3repE0EEENS1_30default_config_static_selectorELNS0_4arch9wavefront6targetE0EEEvT1_,"axG",@progbits,_ZN7rocprim17ROCPRIM_400000_NS6detail17trampoline_kernelINS0_14default_configENS1_20scan_config_selectorIiEEZZNS1_9scan_implILNS1_25lookback_scan_determinismE0ELb0ELb0ES3_N6thrust23THRUST_200600_302600_NS6detail15normal_iteratorINS9_10device_ptrIiEEEESE_iNS9_4plusIvEEiEEDaPvRmT3_T4_T5_mT6_P12ihipStream_tbENKUlT_T0_E_clISt17integral_constantIbLb0EESU_EEDaSP_SQ_EUlSP_E0_NS1_11comp_targetILNS1_3genE0ELNS1_11target_archE4294967295ELNS1_3gpuE0ELNS1_3repE0EEENS1_30default_config_static_selectorELNS0_4arch9wavefront6targetE0EEEvT1_,comdat
	.protected	_ZN7rocprim17ROCPRIM_400000_NS6detail17trampoline_kernelINS0_14default_configENS1_20scan_config_selectorIiEEZZNS1_9scan_implILNS1_25lookback_scan_determinismE0ELb0ELb0ES3_N6thrust23THRUST_200600_302600_NS6detail15normal_iteratorINS9_10device_ptrIiEEEESE_iNS9_4plusIvEEiEEDaPvRmT3_T4_T5_mT6_P12ihipStream_tbENKUlT_T0_E_clISt17integral_constantIbLb0EESU_EEDaSP_SQ_EUlSP_E0_NS1_11comp_targetILNS1_3genE0ELNS1_11target_archE4294967295ELNS1_3gpuE0ELNS1_3repE0EEENS1_30default_config_static_selectorELNS0_4arch9wavefront6targetE0EEEvT1_ ; -- Begin function _ZN7rocprim17ROCPRIM_400000_NS6detail17trampoline_kernelINS0_14default_configENS1_20scan_config_selectorIiEEZZNS1_9scan_implILNS1_25lookback_scan_determinismE0ELb0ELb0ES3_N6thrust23THRUST_200600_302600_NS6detail15normal_iteratorINS9_10device_ptrIiEEEESE_iNS9_4plusIvEEiEEDaPvRmT3_T4_T5_mT6_P12ihipStream_tbENKUlT_T0_E_clISt17integral_constantIbLb0EESU_EEDaSP_SQ_EUlSP_E0_NS1_11comp_targetILNS1_3genE0ELNS1_11target_archE4294967295ELNS1_3gpuE0ELNS1_3repE0EEENS1_30default_config_static_selectorELNS0_4arch9wavefront6targetE0EEEvT1_
	.globl	_ZN7rocprim17ROCPRIM_400000_NS6detail17trampoline_kernelINS0_14default_configENS1_20scan_config_selectorIiEEZZNS1_9scan_implILNS1_25lookback_scan_determinismE0ELb0ELb0ES3_N6thrust23THRUST_200600_302600_NS6detail15normal_iteratorINS9_10device_ptrIiEEEESE_iNS9_4plusIvEEiEEDaPvRmT3_T4_T5_mT6_P12ihipStream_tbENKUlT_T0_E_clISt17integral_constantIbLb0EESU_EEDaSP_SQ_EUlSP_E0_NS1_11comp_targetILNS1_3genE0ELNS1_11target_archE4294967295ELNS1_3gpuE0ELNS1_3repE0EEENS1_30default_config_static_selectorELNS0_4arch9wavefront6targetE0EEEvT1_
	.p2align	8
	.type	_ZN7rocprim17ROCPRIM_400000_NS6detail17trampoline_kernelINS0_14default_configENS1_20scan_config_selectorIiEEZZNS1_9scan_implILNS1_25lookback_scan_determinismE0ELb0ELb0ES3_N6thrust23THRUST_200600_302600_NS6detail15normal_iteratorINS9_10device_ptrIiEEEESE_iNS9_4plusIvEEiEEDaPvRmT3_T4_T5_mT6_P12ihipStream_tbENKUlT_T0_E_clISt17integral_constantIbLb0EESU_EEDaSP_SQ_EUlSP_E0_NS1_11comp_targetILNS1_3genE0ELNS1_11target_archE4294967295ELNS1_3gpuE0ELNS1_3repE0EEENS1_30default_config_static_selectorELNS0_4arch9wavefront6targetE0EEEvT1_,@function
_ZN7rocprim17ROCPRIM_400000_NS6detail17trampoline_kernelINS0_14default_configENS1_20scan_config_selectorIiEEZZNS1_9scan_implILNS1_25lookback_scan_determinismE0ELb0ELb0ES3_N6thrust23THRUST_200600_302600_NS6detail15normal_iteratorINS9_10device_ptrIiEEEESE_iNS9_4plusIvEEiEEDaPvRmT3_T4_T5_mT6_P12ihipStream_tbENKUlT_T0_E_clISt17integral_constantIbLb0EESU_EEDaSP_SQ_EUlSP_E0_NS1_11comp_targetILNS1_3genE0ELNS1_11target_archE4294967295ELNS1_3gpuE0ELNS1_3repE0EEENS1_30default_config_static_selectorELNS0_4arch9wavefront6targetE0EEEvT1_: ; @_ZN7rocprim17ROCPRIM_400000_NS6detail17trampoline_kernelINS0_14default_configENS1_20scan_config_selectorIiEEZZNS1_9scan_implILNS1_25lookback_scan_determinismE0ELb0ELb0ES3_N6thrust23THRUST_200600_302600_NS6detail15normal_iteratorINS9_10device_ptrIiEEEESE_iNS9_4plusIvEEiEEDaPvRmT3_T4_T5_mT6_P12ihipStream_tbENKUlT_T0_E_clISt17integral_constantIbLb0EESU_EEDaSP_SQ_EUlSP_E0_NS1_11comp_targetILNS1_3genE0ELNS1_11target_archE4294967295ELNS1_3gpuE0ELNS1_3repE0EEENS1_30default_config_static_selectorELNS0_4arch9wavefront6targetE0EEEvT1_
; %bb.0:
	.section	.rodata,"a",@progbits
	.p2align	6, 0x0
	.amdhsa_kernel _ZN7rocprim17ROCPRIM_400000_NS6detail17trampoline_kernelINS0_14default_configENS1_20scan_config_selectorIiEEZZNS1_9scan_implILNS1_25lookback_scan_determinismE0ELb0ELb0ES3_N6thrust23THRUST_200600_302600_NS6detail15normal_iteratorINS9_10device_ptrIiEEEESE_iNS9_4plusIvEEiEEDaPvRmT3_T4_T5_mT6_P12ihipStream_tbENKUlT_T0_E_clISt17integral_constantIbLb0EESU_EEDaSP_SQ_EUlSP_E0_NS1_11comp_targetILNS1_3genE0ELNS1_11target_archE4294967295ELNS1_3gpuE0ELNS1_3repE0EEENS1_30default_config_static_selectorELNS0_4arch9wavefront6targetE0EEEvT1_
		.amdhsa_group_segment_fixed_size 0
		.amdhsa_private_segment_fixed_size 0
		.amdhsa_kernarg_size 32
		.amdhsa_user_sgpr_count 15
		.amdhsa_user_sgpr_dispatch_ptr 0
		.amdhsa_user_sgpr_queue_ptr 0
		.amdhsa_user_sgpr_kernarg_segment_ptr 1
		.amdhsa_user_sgpr_dispatch_id 0
		.amdhsa_user_sgpr_private_segment_size 0
		.amdhsa_wavefront_size32 1
		.amdhsa_uses_dynamic_stack 0
		.amdhsa_enable_private_segment 0
		.amdhsa_system_sgpr_workgroup_id_x 1
		.amdhsa_system_sgpr_workgroup_id_y 0
		.amdhsa_system_sgpr_workgroup_id_z 0
		.amdhsa_system_sgpr_workgroup_info 0
		.amdhsa_system_vgpr_workitem_id 0
		.amdhsa_next_free_vgpr 1
		.amdhsa_next_free_sgpr 1
		.amdhsa_reserve_vcc 0
		.amdhsa_float_round_mode_32 0
		.amdhsa_float_round_mode_16_64 0
		.amdhsa_float_denorm_mode_32 3
		.amdhsa_float_denorm_mode_16_64 3
		.amdhsa_dx10_clamp 1
		.amdhsa_ieee_mode 1
		.amdhsa_fp16_overflow 0
		.amdhsa_workgroup_processor_mode 1
		.amdhsa_memory_ordered 1
		.amdhsa_forward_progress 0
		.amdhsa_shared_vgpr_count 0
		.amdhsa_exception_fp_ieee_invalid_op 0
		.amdhsa_exception_fp_denorm_src 0
		.amdhsa_exception_fp_ieee_div_zero 0
		.amdhsa_exception_fp_ieee_overflow 0
		.amdhsa_exception_fp_ieee_underflow 0
		.amdhsa_exception_fp_ieee_inexact 0
		.amdhsa_exception_int_div_zero 0
	.end_amdhsa_kernel
	.section	.text._ZN7rocprim17ROCPRIM_400000_NS6detail17trampoline_kernelINS0_14default_configENS1_20scan_config_selectorIiEEZZNS1_9scan_implILNS1_25lookback_scan_determinismE0ELb0ELb0ES3_N6thrust23THRUST_200600_302600_NS6detail15normal_iteratorINS9_10device_ptrIiEEEESE_iNS9_4plusIvEEiEEDaPvRmT3_T4_T5_mT6_P12ihipStream_tbENKUlT_T0_E_clISt17integral_constantIbLb0EESU_EEDaSP_SQ_EUlSP_E0_NS1_11comp_targetILNS1_3genE0ELNS1_11target_archE4294967295ELNS1_3gpuE0ELNS1_3repE0EEENS1_30default_config_static_selectorELNS0_4arch9wavefront6targetE0EEEvT1_,"axG",@progbits,_ZN7rocprim17ROCPRIM_400000_NS6detail17trampoline_kernelINS0_14default_configENS1_20scan_config_selectorIiEEZZNS1_9scan_implILNS1_25lookback_scan_determinismE0ELb0ELb0ES3_N6thrust23THRUST_200600_302600_NS6detail15normal_iteratorINS9_10device_ptrIiEEEESE_iNS9_4plusIvEEiEEDaPvRmT3_T4_T5_mT6_P12ihipStream_tbENKUlT_T0_E_clISt17integral_constantIbLb0EESU_EEDaSP_SQ_EUlSP_E0_NS1_11comp_targetILNS1_3genE0ELNS1_11target_archE4294967295ELNS1_3gpuE0ELNS1_3repE0EEENS1_30default_config_static_selectorELNS0_4arch9wavefront6targetE0EEEvT1_,comdat
.Lfunc_end20:
	.size	_ZN7rocprim17ROCPRIM_400000_NS6detail17trampoline_kernelINS0_14default_configENS1_20scan_config_selectorIiEEZZNS1_9scan_implILNS1_25lookback_scan_determinismE0ELb0ELb0ES3_N6thrust23THRUST_200600_302600_NS6detail15normal_iteratorINS9_10device_ptrIiEEEESE_iNS9_4plusIvEEiEEDaPvRmT3_T4_T5_mT6_P12ihipStream_tbENKUlT_T0_E_clISt17integral_constantIbLb0EESU_EEDaSP_SQ_EUlSP_E0_NS1_11comp_targetILNS1_3genE0ELNS1_11target_archE4294967295ELNS1_3gpuE0ELNS1_3repE0EEENS1_30default_config_static_selectorELNS0_4arch9wavefront6targetE0EEEvT1_, .Lfunc_end20-_ZN7rocprim17ROCPRIM_400000_NS6detail17trampoline_kernelINS0_14default_configENS1_20scan_config_selectorIiEEZZNS1_9scan_implILNS1_25lookback_scan_determinismE0ELb0ELb0ES3_N6thrust23THRUST_200600_302600_NS6detail15normal_iteratorINS9_10device_ptrIiEEEESE_iNS9_4plusIvEEiEEDaPvRmT3_T4_T5_mT6_P12ihipStream_tbENKUlT_T0_E_clISt17integral_constantIbLb0EESU_EEDaSP_SQ_EUlSP_E0_NS1_11comp_targetILNS1_3genE0ELNS1_11target_archE4294967295ELNS1_3gpuE0ELNS1_3repE0EEENS1_30default_config_static_selectorELNS0_4arch9wavefront6targetE0EEEvT1_
                                        ; -- End function
	.section	.AMDGPU.csdata,"",@progbits
; Kernel info:
; codeLenInByte = 0
; NumSgprs: 0
; NumVgprs: 0
; ScratchSize: 0
; MemoryBound: 0
; FloatMode: 240
; IeeeMode: 1
; LDSByteSize: 0 bytes/workgroup (compile time only)
; SGPRBlocks: 0
; VGPRBlocks: 0
; NumSGPRsForWavesPerEU: 1
; NumVGPRsForWavesPerEU: 1
; Occupancy: 16
; WaveLimiterHint : 0
; COMPUTE_PGM_RSRC2:SCRATCH_EN: 0
; COMPUTE_PGM_RSRC2:USER_SGPR: 15
; COMPUTE_PGM_RSRC2:TRAP_HANDLER: 0
; COMPUTE_PGM_RSRC2:TGID_X_EN: 1
; COMPUTE_PGM_RSRC2:TGID_Y_EN: 0
; COMPUTE_PGM_RSRC2:TGID_Z_EN: 0
; COMPUTE_PGM_RSRC2:TIDIG_COMP_CNT: 0
	.section	.text._ZN7rocprim17ROCPRIM_400000_NS6detail17trampoline_kernelINS0_14default_configENS1_20scan_config_selectorIiEEZZNS1_9scan_implILNS1_25lookback_scan_determinismE0ELb0ELb0ES3_N6thrust23THRUST_200600_302600_NS6detail15normal_iteratorINS9_10device_ptrIiEEEESE_iNS9_4plusIvEEiEEDaPvRmT3_T4_T5_mT6_P12ihipStream_tbENKUlT_T0_E_clISt17integral_constantIbLb0EESU_EEDaSP_SQ_EUlSP_E0_NS1_11comp_targetILNS1_3genE5ELNS1_11target_archE942ELNS1_3gpuE9ELNS1_3repE0EEENS1_30default_config_static_selectorELNS0_4arch9wavefront6targetE0EEEvT1_,"axG",@progbits,_ZN7rocprim17ROCPRIM_400000_NS6detail17trampoline_kernelINS0_14default_configENS1_20scan_config_selectorIiEEZZNS1_9scan_implILNS1_25lookback_scan_determinismE0ELb0ELb0ES3_N6thrust23THRUST_200600_302600_NS6detail15normal_iteratorINS9_10device_ptrIiEEEESE_iNS9_4plusIvEEiEEDaPvRmT3_T4_T5_mT6_P12ihipStream_tbENKUlT_T0_E_clISt17integral_constantIbLb0EESU_EEDaSP_SQ_EUlSP_E0_NS1_11comp_targetILNS1_3genE5ELNS1_11target_archE942ELNS1_3gpuE9ELNS1_3repE0EEENS1_30default_config_static_selectorELNS0_4arch9wavefront6targetE0EEEvT1_,comdat
	.protected	_ZN7rocprim17ROCPRIM_400000_NS6detail17trampoline_kernelINS0_14default_configENS1_20scan_config_selectorIiEEZZNS1_9scan_implILNS1_25lookback_scan_determinismE0ELb0ELb0ES3_N6thrust23THRUST_200600_302600_NS6detail15normal_iteratorINS9_10device_ptrIiEEEESE_iNS9_4plusIvEEiEEDaPvRmT3_T4_T5_mT6_P12ihipStream_tbENKUlT_T0_E_clISt17integral_constantIbLb0EESU_EEDaSP_SQ_EUlSP_E0_NS1_11comp_targetILNS1_3genE5ELNS1_11target_archE942ELNS1_3gpuE9ELNS1_3repE0EEENS1_30default_config_static_selectorELNS0_4arch9wavefront6targetE0EEEvT1_ ; -- Begin function _ZN7rocprim17ROCPRIM_400000_NS6detail17trampoline_kernelINS0_14default_configENS1_20scan_config_selectorIiEEZZNS1_9scan_implILNS1_25lookback_scan_determinismE0ELb0ELb0ES3_N6thrust23THRUST_200600_302600_NS6detail15normal_iteratorINS9_10device_ptrIiEEEESE_iNS9_4plusIvEEiEEDaPvRmT3_T4_T5_mT6_P12ihipStream_tbENKUlT_T0_E_clISt17integral_constantIbLb0EESU_EEDaSP_SQ_EUlSP_E0_NS1_11comp_targetILNS1_3genE5ELNS1_11target_archE942ELNS1_3gpuE9ELNS1_3repE0EEENS1_30default_config_static_selectorELNS0_4arch9wavefront6targetE0EEEvT1_
	.globl	_ZN7rocprim17ROCPRIM_400000_NS6detail17trampoline_kernelINS0_14default_configENS1_20scan_config_selectorIiEEZZNS1_9scan_implILNS1_25lookback_scan_determinismE0ELb0ELb0ES3_N6thrust23THRUST_200600_302600_NS6detail15normal_iteratorINS9_10device_ptrIiEEEESE_iNS9_4plusIvEEiEEDaPvRmT3_T4_T5_mT6_P12ihipStream_tbENKUlT_T0_E_clISt17integral_constantIbLb0EESU_EEDaSP_SQ_EUlSP_E0_NS1_11comp_targetILNS1_3genE5ELNS1_11target_archE942ELNS1_3gpuE9ELNS1_3repE0EEENS1_30default_config_static_selectorELNS0_4arch9wavefront6targetE0EEEvT1_
	.p2align	8
	.type	_ZN7rocprim17ROCPRIM_400000_NS6detail17trampoline_kernelINS0_14default_configENS1_20scan_config_selectorIiEEZZNS1_9scan_implILNS1_25lookback_scan_determinismE0ELb0ELb0ES3_N6thrust23THRUST_200600_302600_NS6detail15normal_iteratorINS9_10device_ptrIiEEEESE_iNS9_4plusIvEEiEEDaPvRmT3_T4_T5_mT6_P12ihipStream_tbENKUlT_T0_E_clISt17integral_constantIbLb0EESU_EEDaSP_SQ_EUlSP_E0_NS1_11comp_targetILNS1_3genE5ELNS1_11target_archE942ELNS1_3gpuE9ELNS1_3repE0EEENS1_30default_config_static_selectorELNS0_4arch9wavefront6targetE0EEEvT1_,@function
_ZN7rocprim17ROCPRIM_400000_NS6detail17trampoline_kernelINS0_14default_configENS1_20scan_config_selectorIiEEZZNS1_9scan_implILNS1_25lookback_scan_determinismE0ELb0ELb0ES3_N6thrust23THRUST_200600_302600_NS6detail15normal_iteratorINS9_10device_ptrIiEEEESE_iNS9_4plusIvEEiEEDaPvRmT3_T4_T5_mT6_P12ihipStream_tbENKUlT_T0_E_clISt17integral_constantIbLb0EESU_EEDaSP_SQ_EUlSP_E0_NS1_11comp_targetILNS1_3genE5ELNS1_11target_archE942ELNS1_3gpuE9ELNS1_3repE0EEENS1_30default_config_static_selectorELNS0_4arch9wavefront6targetE0EEEvT1_: ; @_ZN7rocprim17ROCPRIM_400000_NS6detail17trampoline_kernelINS0_14default_configENS1_20scan_config_selectorIiEEZZNS1_9scan_implILNS1_25lookback_scan_determinismE0ELb0ELb0ES3_N6thrust23THRUST_200600_302600_NS6detail15normal_iteratorINS9_10device_ptrIiEEEESE_iNS9_4plusIvEEiEEDaPvRmT3_T4_T5_mT6_P12ihipStream_tbENKUlT_T0_E_clISt17integral_constantIbLb0EESU_EEDaSP_SQ_EUlSP_E0_NS1_11comp_targetILNS1_3genE5ELNS1_11target_archE942ELNS1_3gpuE9ELNS1_3repE0EEENS1_30default_config_static_selectorELNS0_4arch9wavefront6targetE0EEEvT1_
; %bb.0:
	.section	.rodata,"a",@progbits
	.p2align	6, 0x0
	.amdhsa_kernel _ZN7rocprim17ROCPRIM_400000_NS6detail17trampoline_kernelINS0_14default_configENS1_20scan_config_selectorIiEEZZNS1_9scan_implILNS1_25lookback_scan_determinismE0ELb0ELb0ES3_N6thrust23THRUST_200600_302600_NS6detail15normal_iteratorINS9_10device_ptrIiEEEESE_iNS9_4plusIvEEiEEDaPvRmT3_T4_T5_mT6_P12ihipStream_tbENKUlT_T0_E_clISt17integral_constantIbLb0EESU_EEDaSP_SQ_EUlSP_E0_NS1_11comp_targetILNS1_3genE5ELNS1_11target_archE942ELNS1_3gpuE9ELNS1_3repE0EEENS1_30default_config_static_selectorELNS0_4arch9wavefront6targetE0EEEvT1_
		.amdhsa_group_segment_fixed_size 0
		.amdhsa_private_segment_fixed_size 0
		.amdhsa_kernarg_size 32
		.amdhsa_user_sgpr_count 15
		.amdhsa_user_sgpr_dispatch_ptr 0
		.amdhsa_user_sgpr_queue_ptr 0
		.amdhsa_user_sgpr_kernarg_segment_ptr 1
		.amdhsa_user_sgpr_dispatch_id 0
		.amdhsa_user_sgpr_private_segment_size 0
		.amdhsa_wavefront_size32 1
		.amdhsa_uses_dynamic_stack 0
		.amdhsa_enable_private_segment 0
		.amdhsa_system_sgpr_workgroup_id_x 1
		.amdhsa_system_sgpr_workgroup_id_y 0
		.amdhsa_system_sgpr_workgroup_id_z 0
		.amdhsa_system_sgpr_workgroup_info 0
		.amdhsa_system_vgpr_workitem_id 0
		.amdhsa_next_free_vgpr 1
		.amdhsa_next_free_sgpr 1
		.amdhsa_reserve_vcc 0
		.amdhsa_float_round_mode_32 0
		.amdhsa_float_round_mode_16_64 0
		.amdhsa_float_denorm_mode_32 3
		.amdhsa_float_denorm_mode_16_64 3
		.amdhsa_dx10_clamp 1
		.amdhsa_ieee_mode 1
		.amdhsa_fp16_overflow 0
		.amdhsa_workgroup_processor_mode 1
		.amdhsa_memory_ordered 1
		.amdhsa_forward_progress 0
		.amdhsa_shared_vgpr_count 0
		.amdhsa_exception_fp_ieee_invalid_op 0
		.amdhsa_exception_fp_denorm_src 0
		.amdhsa_exception_fp_ieee_div_zero 0
		.amdhsa_exception_fp_ieee_overflow 0
		.amdhsa_exception_fp_ieee_underflow 0
		.amdhsa_exception_fp_ieee_inexact 0
		.amdhsa_exception_int_div_zero 0
	.end_amdhsa_kernel
	.section	.text._ZN7rocprim17ROCPRIM_400000_NS6detail17trampoline_kernelINS0_14default_configENS1_20scan_config_selectorIiEEZZNS1_9scan_implILNS1_25lookback_scan_determinismE0ELb0ELb0ES3_N6thrust23THRUST_200600_302600_NS6detail15normal_iteratorINS9_10device_ptrIiEEEESE_iNS9_4plusIvEEiEEDaPvRmT3_T4_T5_mT6_P12ihipStream_tbENKUlT_T0_E_clISt17integral_constantIbLb0EESU_EEDaSP_SQ_EUlSP_E0_NS1_11comp_targetILNS1_3genE5ELNS1_11target_archE942ELNS1_3gpuE9ELNS1_3repE0EEENS1_30default_config_static_selectorELNS0_4arch9wavefront6targetE0EEEvT1_,"axG",@progbits,_ZN7rocprim17ROCPRIM_400000_NS6detail17trampoline_kernelINS0_14default_configENS1_20scan_config_selectorIiEEZZNS1_9scan_implILNS1_25lookback_scan_determinismE0ELb0ELb0ES3_N6thrust23THRUST_200600_302600_NS6detail15normal_iteratorINS9_10device_ptrIiEEEESE_iNS9_4plusIvEEiEEDaPvRmT3_T4_T5_mT6_P12ihipStream_tbENKUlT_T0_E_clISt17integral_constantIbLb0EESU_EEDaSP_SQ_EUlSP_E0_NS1_11comp_targetILNS1_3genE5ELNS1_11target_archE942ELNS1_3gpuE9ELNS1_3repE0EEENS1_30default_config_static_selectorELNS0_4arch9wavefront6targetE0EEEvT1_,comdat
.Lfunc_end21:
	.size	_ZN7rocprim17ROCPRIM_400000_NS6detail17trampoline_kernelINS0_14default_configENS1_20scan_config_selectorIiEEZZNS1_9scan_implILNS1_25lookback_scan_determinismE0ELb0ELb0ES3_N6thrust23THRUST_200600_302600_NS6detail15normal_iteratorINS9_10device_ptrIiEEEESE_iNS9_4plusIvEEiEEDaPvRmT3_T4_T5_mT6_P12ihipStream_tbENKUlT_T0_E_clISt17integral_constantIbLb0EESU_EEDaSP_SQ_EUlSP_E0_NS1_11comp_targetILNS1_3genE5ELNS1_11target_archE942ELNS1_3gpuE9ELNS1_3repE0EEENS1_30default_config_static_selectorELNS0_4arch9wavefront6targetE0EEEvT1_, .Lfunc_end21-_ZN7rocprim17ROCPRIM_400000_NS6detail17trampoline_kernelINS0_14default_configENS1_20scan_config_selectorIiEEZZNS1_9scan_implILNS1_25lookback_scan_determinismE0ELb0ELb0ES3_N6thrust23THRUST_200600_302600_NS6detail15normal_iteratorINS9_10device_ptrIiEEEESE_iNS9_4plusIvEEiEEDaPvRmT3_T4_T5_mT6_P12ihipStream_tbENKUlT_T0_E_clISt17integral_constantIbLb0EESU_EEDaSP_SQ_EUlSP_E0_NS1_11comp_targetILNS1_3genE5ELNS1_11target_archE942ELNS1_3gpuE9ELNS1_3repE0EEENS1_30default_config_static_selectorELNS0_4arch9wavefront6targetE0EEEvT1_
                                        ; -- End function
	.section	.AMDGPU.csdata,"",@progbits
; Kernel info:
; codeLenInByte = 0
; NumSgprs: 0
; NumVgprs: 0
; ScratchSize: 0
; MemoryBound: 0
; FloatMode: 240
; IeeeMode: 1
; LDSByteSize: 0 bytes/workgroup (compile time only)
; SGPRBlocks: 0
; VGPRBlocks: 0
; NumSGPRsForWavesPerEU: 1
; NumVGPRsForWavesPerEU: 1
; Occupancy: 16
; WaveLimiterHint : 0
; COMPUTE_PGM_RSRC2:SCRATCH_EN: 0
; COMPUTE_PGM_RSRC2:USER_SGPR: 15
; COMPUTE_PGM_RSRC2:TRAP_HANDLER: 0
; COMPUTE_PGM_RSRC2:TGID_X_EN: 1
; COMPUTE_PGM_RSRC2:TGID_Y_EN: 0
; COMPUTE_PGM_RSRC2:TGID_Z_EN: 0
; COMPUTE_PGM_RSRC2:TIDIG_COMP_CNT: 0
	.section	.text._ZN7rocprim17ROCPRIM_400000_NS6detail17trampoline_kernelINS0_14default_configENS1_20scan_config_selectorIiEEZZNS1_9scan_implILNS1_25lookback_scan_determinismE0ELb0ELb0ES3_N6thrust23THRUST_200600_302600_NS6detail15normal_iteratorINS9_10device_ptrIiEEEESE_iNS9_4plusIvEEiEEDaPvRmT3_T4_T5_mT6_P12ihipStream_tbENKUlT_T0_E_clISt17integral_constantIbLb0EESU_EEDaSP_SQ_EUlSP_E0_NS1_11comp_targetILNS1_3genE4ELNS1_11target_archE910ELNS1_3gpuE8ELNS1_3repE0EEENS1_30default_config_static_selectorELNS0_4arch9wavefront6targetE0EEEvT1_,"axG",@progbits,_ZN7rocprim17ROCPRIM_400000_NS6detail17trampoline_kernelINS0_14default_configENS1_20scan_config_selectorIiEEZZNS1_9scan_implILNS1_25lookback_scan_determinismE0ELb0ELb0ES3_N6thrust23THRUST_200600_302600_NS6detail15normal_iteratorINS9_10device_ptrIiEEEESE_iNS9_4plusIvEEiEEDaPvRmT3_T4_T5_mT6_P12ihipStream_tbENKUlT_T0_E_clISt17integral_constantIbLb0EESU_EEDaSP_SQ_EUlSP_E0_NS1_11comp_targetILNS1_3genE4ELNS1_11target_archE910ELNS1_3gpuE8ELNS1_3repE0EEENS1_30default_config_static_selectorELNS0_4arch9wavefront6targetE0EEEvT1_,comdat
	.protected	_ZN7rocprim17ROCPRIM_400000_NS6detail17trampoline_kernelINS0_14default_configENS1_20scan_config_selectorIiEEZZNS1_9scan_implILNS1_25lookback_scan_determinismE0ELb0ELb0ES3_N6thrust23THRUST_200600_302600_NS6detail15normal_iteratorINS9_10device_ptrIiEEEESE_iNS9_4plusIvEEiEEDaPvRmT3_T4_T5_mT6_P12ihipStream_tbENKUlT_T0_E_clISt17integral_constantIbLb0EESU_EEDaSP_SQ_EUlSP_E0_NS1_11comp_targetILNS1_3genE4ELNS1_11target_archE910ELNS1_3gpuE8ELNS1_3repE0EEENS1_30default_config_static_selectorELNS0_4arch9wavefront6targetE0EEEvT1_ ; -- Begin function _ZN7rocprim17ROCPRIM_400000_NS6detail17trampoline_kernelINS0_14default_configENS1_20scan_config_selectorIiEEZZNS1_9scan_implILNS1_25lookback_scan_determinismE0ELb0ELb0ES3_N6thrust23THRUST_200600_302600_NS6detail15normal_iteratorINS9_10device_ptrIiEEEESE_iNS9_4plusIvEEiEEDaPvRmT3_T4_T5_mT6_P12ihipStream_tbENKUlT_T0_E_clISt17integral_constantIbLb0EESU_EEDaSP_SQ_EUlSP_E0_NS1_11comp_targetILNS1_3genE4ELNS1_11target_archE910ELNS1_3gpuE8ELNS1_3repE0EEENS1_30default_config_static_selectorELNS0_4arch9wavefront6targetE0EEEvT1_
	.globl	_ZN7rocprim17ROCPRIM_400000_NS6detail17trampoline_kernelINS0_14default_configENS1_20scan_config_selectorIiEEZZNS1_9scan_implILNS1_25lookback_scan_determinismE0ELb0ELb0ES3_N6thrust23THRUST_200600_302600_NS6detail15normal_iteratorINS9_10device_ptrIiEEEESE_iNS9_4plusIvEEiEEDaPvRmT3_T4_T5_mT6_P12ihipStream_tbENKUlT_T0_E_clISt17integral_constantIbLb0EESU_EEDaSP_SQ_EUlSP_E0_NS1_11comp_targetILNS1_3genE4ELNS1_11target_archE910ELNS1_3gpuE8ELNS1_3repE0EEENS1_30default_config_static_selectorELNS0_4arch9wavefront6targetE0EEEvT1_
	.p2align	8
	.type	_ZN7rocprim17ROCPRIM_400000_NS6detail17trampoline_kernelINS0_14default_configENS1_20scan_config_selectorIiEEZZNS1_9scan_implILNS1_25lookback_scan_determinismE0ELb0ELb0ES3_N6thrust23THRUST_200600_302600_NS6detail15normal_iteratorINS9_10device_ptrIiEEEESE_iNS9_4plusIvEEiEEDaPvRmT3_T4_T5_mT6_P12ihipStream_tbENKUlT_T0_E_clISt17integral_constantIbLb0EESU_EEDaSP_SQ_EUlSP_E0_NS1_11comp_targetILNS1_3genE4ELNS1_11target_archE910ELNS1_3gpuE8ELNS1_3repE0EEENS1_30default_config_static_selectorELNS0_4arch9wavefront6targetE0EEEvT1_,@function
_ZN7rocprim17ROCPRIM_400000_NS6detail17trampoline_kernelINS0_14default_configENS1_20scan_config_selectorIiEEZZNS1_9scan_implILNS1_25lookback_scan_determinismE0ELb0ELb0ES3_N6thrust23THRUST_200600_302600_NS6detail15normal_iteratorINS9_10device_ptrIiEEEESE_iNS9_4plusIvEEiEEDaPvRmT3_T4_T5_mT6_P12ihipStream_tbENKUlT_T0_E_clISt17integral_constantIbLb0EESU_EEDaSP_SQ_EUlSP_E0_NS1_11comp_targetILNS1_3genE4ELNS1_11target_archE910ELNS1_3gpuE8ELNS1_3repE0EEENS1_30default_config_static_selectorELNS0_4arch9wavefront6targetE0EEEvT1_: ; @_ZN7rocprim17ROCPRIM_400000_NS6detail17trampoline_kernelINS0_14default_configENS1_20scan_config_selectorIiEEZZNS1_9scan_implILNS1_25lookback_scan_determinismE0ELb0ELb0ES3_N6thrust23THRUST_200600_302600_NS6detail15normal_iteratorINS9_10device_ptrIiEEEESE_iNS9_4plusIvEEiEEDaPvRmT3_T4_T5_mT6_P12ihipStream_tbENKUlT_T0_E_clISt17integral_constantIbLb0EESU_EEDaSP_SQ_EUlSP_E0_NS1_11comp_targetILNS1_3genE4ELNS1_11target_archE910ELNS1_3gpuE8ELNS1_3repE0EEENS1_30default_config_static_selectorELNS0_4arch9wavefront6targetE0EEEvT1_
; %bb.0:
	.section	.rodata,"a",@progbits
	.p2align	6, 0x0
	.amdhsa_kernel _ZN7rocprim17ROCPRIM_400000_NS6detail17trampoline_kernelINS0_14default_configENS1_20scan_config_selectorIiEEZZNS1_9scan_implILNS1_25lookback_scan_determinismE0ELb0ELb0ES3_N6thrust23THRUST_200600_302600_NS6detail15normal_iteratorINS9_10device_ptrIiEEEESE_iNS9_4plusIvEEiEEDaPvRmT3_T4_T5_mT6_P12ihipStream_tbENKUlT_T0_E_clISt17integral_constantIbLb0EESU_EEDaSP_SQ_EUlSP_E0_NS1_11comp_targetILNS1_3genE4ELNS1_11target_archE910ELNS1_3gpuE8ELNS1_3repE0EEENS1_30default_config_static_selectorELNS0_4arch9wavefront6targetE0EEEvT1_
		.amdhsa_group_segment_fixed_size 0
		.amdhsa_private_segment_fixed_size 0
		.amdhsa_kernarg_size 32
		.amdhsa_user_sgpr_count 15
		.amdhsa_user_sgpr_dispatch_ptr 0
		.amdhsa_user_sgpr_queue_ptr 0
		.amdhsa_user_sgpr_kernarg_segment_ptr 1
		.amdhsa_user_sgpr_dispatch_id 0
		.amdhsa_user_sgpr_private_segment_size 0
		.amdhsa_wavefront_size32 1
		.amdhsa_uses_dynamic_stack 0
		.amdhsa_enable_private_segment 0
		.amdhsa_system_sgpr_workgroup_id_x 1
		.amdhsa_system_sgpr_workgroup_id_y 0
		.amdhsa_system_sgpr_workgroup_id_z 0
		.amdhsa_system_sgpr_workgroup_info 0
		.amdhsa_system_vgpr_workitem_id 0
		.amdhsa_next_free_vgpr 1
		.amdhsa_next_free_sgpr 1
		.amdhsa_reserve_vcc 0
		.amdhsa_float_round_mode_32 0
		.amdhsa_float_round_mode_16_64 0
		.amdhsa_float_denorm_mode_32 3
		.amdhsa_float_denorm_mode_16_64 3
		.amdhsa_dx10_clamp 1
		.amdhsa_ieee_mode 1
		.amdhsa_fp16_overflow 0
		.amdhsa_workgroup_processor_mode 1
		.amdhsa_memory_ordered 1
		.amdhsa_forward_progress 0
		.amdhsa_shared_vgpr_count 0
		.amdhsa_exception_fp_ieee_invalid_op 0
		.amdhsa_exception_fp_denorm_src 0
		.amdhsa_exception_fp_ieee_div_zero 0
		.amdhsa_exception_fp_ieee_overflow 0
		.amdhsa_exception_fp_ieee_underflow 0
		.amdhsa_exception_fp_ieee_inexact 0
		.amdhsa_exception_int_div_zero 0
	.end_amdhsa_kernel
	.section	.text._ZN7rocprim17ROCPRIM_400000_NS6detail17trampoline_kernelINS0_14default_configENS1_20scan_config_selectorIiEEZZNS1_9scan_implILNS1_25lookback_scan_determinismE0ELb0ELb0ES3_N6thrust23THRUST_200600_302600_NS6detail15normal_iteratorINS9_10device_ptrIiEEEESE_iNS9_4plusIvEEiEEDaPvRmT3_T4_T5_mT6_P12ihipStream_tbENKUlT_T0_E_clISt17integral_constantIbLb0EESU_EEDaSP_SQ_EUlSP_E0_NS1_11comp_targetILNS1_3genE4ELNS1_11target_archE910ELNS1_3gpuE8ELNS1_3repE0EEENS1_30default_config_static_selectorELNS0_4arch9wavefront6targetE0EEEvT1_,"axG",@progbits,_ZN7rocprim17ROCPRIM_400000_NS6detail17trampoline_kernelINS0_14default_configENS1_20scan_config_selectorIiEEZZNS1_9scan_implILNS1_25lookback_scan_determinismE0ELb0ELb0ES3_N6thrust23THRUST_200600_302600_NS6detail15normal_iteratorINS9_10device_ptrIiEEEESE_iNS9_4plusIvEEiEEDaPvRmT3_T4_T5_mT6_P12ihipStream_tbENKUlT_T0_E_clISt17integral_constantIbLb0EESU_EEDaSP_SQ_EUlSP_E0_NS1_11comp_targetILNS1_3genE4ELNS1_11target_archE910ELNS1_3gpuE8ELNS1_3repE0EEENS1_30default_config_static_selectorELNS0_4arch9wavefront6targetE0EEEvT1_,comdat
.Lfunc_end22:
	.size	_ZN7rocprim17ROCPRIM_400000_NS6detail17trampoline_kernelINS0_14default_configENS1_20scan_config_selectorIiEEZZNS1_9scan_implILNS1_25lookback_scan_determinismE0ELb0ELb0ES3_N6thrust23THRUST_200600_302600_NS6detail15normal_iteratorINS9_10device_ptrIiEEEESE_iNS9_4plusIvEEiEEDaPvRmT3_T4_T5_mT6_P12ihipStream_tbENKUlT_T0_E_clISt17integral_constantIbLb0EESU_EEDaSP_SQ_EUlSP_E0_NS1_11comp_targetILNS1_3genE4ELNS1_11target_archE910ELNS1_3gpuE8ELNS1_3repE0EEENS1_30default_config_static_selectorELNS0_4arch9wavefront6targetE0EEEvT1_, .Lfunc_end22-_ZN7rocprim17ROCPRIM_400000_NS6detail17trampoline_kernelINS0_14default_configENS1_20scan_config_selectorIiEEZZNS1_9scan_implILNS1_25lookback_scan_determinismE0ELb0ELb0ES3_N6thrust23THRUST_200600_302600_NS6detail15normal_iteratorINS9_10device_ptrIiEEEESE_iNS9_4plusIvEEiEEDaPvRmT3_T4_T5_mT6_P12ihipStream_tbENKUlT_T0_E_clISt17integral_constantIbLb0EESU_EEDaSP_SQ_EUlSP_E0_NS1_11comp_targetILNS1_3genE4ELNS1_11target_archE910ELNS1_3gpuE8ELNS1_3repE0EEENS1_30default_config_static_selectorELNS0_4arch9wavefront6targetE0EEEvT1_
                                        ; -- End function
	.section	.AMDGPU.csdata,"",@progbits
; Kernel info:
; codeLenInByte = 0
; NumSgprs: 0
; NumVgprs: 0
; ScratchSize: 0
; MemoryBound: 0
; FloatMode: 240
; IeeeMode: 1
; LDSByteSize: 0 bytes/workgroup (compile time only)
; SGPRBlocks: 0
; VGPRBlocks: 0
; NumSGPRsForWavesPerEU: 1
; NumVGPRsForWavesPerEU: 1
; Occupancy: 16
; WaveLimiterHint : 0
; COMPUTE_PGM_RSRC2:SCRATCH_EN: 0
; COMPUTE_PGM_RSRC2:USER_SGPR: 15
; COMPUTE_PGM_RSRC2:TRAP_HANDLER: 0
; COMPUTE_PGM_RSRC2:TGID_X_EN: 1
; COMPUTE_PGM_RSRC2:TGID_Y_EN: 0
; COMPUTE_PGM_RSRC2:TGID_Z_EN: 0
; COMPUTE_PGM_RSRC2:TIDIG_COMP_CNT: 0
	.section	.text._ZN7rocprim17ROCPRIM_400000_NS6detail17trampoline_kernelINS0_14default_configENS1_20scan_config_selectorIiEEZZNS1_9scan_implILNS1_25lookback_scan_determinismE0ELb0ELb0ES3_N6thrust23THRUST_200600_302600_NS6detail15normal_iteratorINS9_10device_ptrIiEEEESE_iNS9_4plusIvEEiEEDaPvRmT3_T4_T5_mT6_P12ihipStream_tbENKUlT_T0_E_clISt17integral_constantIbLb0EESU_EEDaSP_SQ_EUlSP_E0_NS1_11comp_targetILNS1_3genE3ELNS1_11target_archE908ELNS1_3gpuE7ELNS1_3repE0EEENS1_30default_config_static_selectorELNS0_4arch9wavefront6targetE0EEEvT1_,"axG",@progbits,_ZN7rocprim17ROCPRIM_400000_NS6detail17trampoline_kernelINS0_14default_configENS1_20scan_config_selectorIiEEZZNS1_9scan_implILNS1_25lookback_scan_determinismE0ELb0ELb0ES3_N6thrust23THRUST_200600_302600_NS6detail15normal_iteratorINS9_10device_ptrIiEEEESE_iNS9_4plusIvEEiEEDaPvRmT3_T4_T5_mT6_P12ihipStream_tbENKUlT_T0_E_clISt17integral_constantIbLb0EESU_EEDaSP_SQ_EUlSP_E0_NS1_11comp_targetILNS1_3genE3ELNS1_11target_archE908ELNS1_3gpuE7ELNS1_3repE0EEENS1_30default_config_static_selectorELNS0_4arch9wavefront6targetE0EEEvT1_,comdat
	.protected	_ZN7rocprim17ROCPRIM_400000_NS6detail17trampoline_kernelINS0_14default_configENS1_20scan_config_selectorIiEEZZNS1_9scan_implILNS1_25lookback_scan_determinismE0ELb0ELb0ES3_N6thrust23THRUST_200600_302600_NS6detail15normal_iteratorINS9_10device_ptrIiEEEESE_iNS9_4plusIvEEiEEDaPvRmT3_T4_T5_mT6_P12ihipStream_tbENKUlT_T0_E_clISt17integral_constantIbLb0EESU_EEDaSP_SQ_EUlSP_E0_NS1_11comp_targetILNS1_3genE3ELNS1_11target_archE908ELNS1_3gpuE7ELNS1_3repE0EEENS1_30default_config_static_selectorELNS0_4arch9wavefront6targetE0EEEvT1_ ; -- Begin function _ZN7rocprim17ROCPRIM_400000_NS6detail17trampoline_kernelINS0_14default_configENS1_20scan_config_selectorIiEEZZNS1_9scan_implILNS1_25lookback_scan_determinismE0ELb0ELb0ES3_N6thrust23THRUST_200600_302600_NS6detail15normal_iteratorINS9_10device_ptrIiEEEESE_iNS9_4plusIvEEiEEDaPvRmT3_T4_T5_mT6_P12ihipStream_tbENKUlT_T0_E_clISt17integral_constantIbLb0EESU_EEDaSP_SQ_EUlSP_E0_NS1_11comp_targetILNS1_3genE3ELNS1_11target_archE908ELNS1_3gpuE7ELNS1_3repE0EEENS1_30default_config_static_selectorELNS0_4arch9wavefront6targetE0EEEvT1_
	.globl	_ZN7rocprim17ROCPRIM_400000_NS6detail17trampoline_kernelINS0_14default_configENS1_20scan_config_selectorIiEEZZNS1_9scan_implILNS1_25lookback_scan_determinismE0ELb0ELb0ES3_N6thrust23THRUST_200600_302600_NS6detail15normal_iteratorINS9_10device_ptrIiEEEESE_iNS9_4plusIvEEiEEDaPvRmT3_T4_T5_mT6_P12ihipStream_tbENKUlT_T0_E_clISt17integral_constantIbLb0EESU_EEDaSP_SQ_EUlSP_E0_NS1_11comp_targetILNS1_3genE3ELNS1_11target_archE908ELNS1_3gpuE7ELNS1_3repE0EEENS1_30default_config_static_selectorELNS0_4arch9wavefront6targetE0EEEvT1_
	.p2align	8
	.type	_ZN7rocprim17ROCPRIM_400000_NS6detail17trampoline_kernelINS0_14default_configENS1_20scan_config_selectorIiEEZZNS1_9scan_implILNS1_25lookback_scan_determinismE0ELb0ELb0ES3_N6thrust23THRUST_200600_302600_NS6detail15normal_iteratorINS9_10device_ptrIiEEEESE_iNS9_4plusIvEEiEEDaPvRmT3_T4_T5_mT6_P12ihipStream_tbENKUlT_T0_E_clISt17integral_constantIbLb0EESU_EEDaSP_SQ_EUlSP_E0_NS1_11comp_targetILNS1_3genE3ELNS1_11target_archE908ELNS1_3gpuE7ELNS1_3repE0EEENS1_30default_config_static_selectorELNS0_4arch9wavefront6targetE0EEEvT1_,@function
_ZN7rocprim17ROCPRIM_400000_NS6detail17trampoline_kernelINS0_14default_configENS1_20scan_config_selectorIiEEZZNS1_9scan_implILNS1_25lookback_scan_determinismE0ELb0ELb0ES3_N6thrust23THRUST_200600_302600_NS6detail15normal_iteratorINS9_10device_ptrIiEEEESE_iNS9_4plusIvEEiEEDaPvRmT3_T4_T5_mT6_P12ihipStream_tbENKUlT_T0_E_clISt17integral_constantIbLb0EESU_EEDaSP_SQ_EUlSP_E0_NS1_11comp_targetILNS1_3genE3ELNS1_11target_archE908ELNS1_3gpuE7ELNS1_3repE0EEENS1_30default_config_static_selectorELNS0_4arch9wavefront6targetE0EEEvT1_: ; @_ZN7rocprim17ROCPRIM_400000_NS6detail17trampoline_kernelINS0_14default_configENS1_20scan_config_selectorIiEEZZNS1_9scan_implILNS1_25lookback_scan_determinismE0ELb0ELb0ES3_N6thrust23THRUST_200600_302600_NS6detail15normal_iteratorINS9_10device_ptrIiEEEESE_iNS9_4plusIvEEiEEDaPvRmT3_T4_T5_mT6_P12ihipStream_tbENKUlT_T0_E_clISt17integral_constantIbLb0EESU_EEDaSP_SQ_EUlSP_E0_NS1_11comp_targetILNS1_3genE3ELNS1_11target_archE908ELNS1_3gpuE7ELNS1_3repE0EEENS1_30default_config_static_selectorELNS0_4arch9wavefront6targetE0EEEvT1_
; %bb.0:
	.section	.rodata,"a",@progbits
	.p2align	6, 0x0
	.amdhsa_kernel _ZN7rocprim17ROCPRIM_400000_NS6detail17trampoline_kernelINS0_14default_configENS1_20scan_config_selectorIiEEZZNS1_9scan_implILNS1_25lookback_scan_determinismE0ELb0ELb0ES3_N6thrust23THRUST_200600_302600_NS6detail15normal_iteratorINS9_10device_ptrIiEEEESE_iNS9_4plusIvEEiEEDaPvRmT3_T4_T5_mT6_P12ihipStream_tbENKUlT_T0_E_clISt17integral_constantIbLb0EESU_EEDaSP_SQ_EUlSP_E0_NS1_11comp_targetILNS1_3genE3ELNS1_11target_archE908ELNS1_3gpuE7ELNS1_3repE0EEENS1_30default_config_static_selectorELNS0_4arch9wavefront6targetE0EEEvT1_
		.amdhsa_group_segment_fixed_size 0
		.amdhsa_private_segment_fixed_size 0
		.amdhsa_kernarg_size 32
		.amdhsa_user_sgpr_count 15
		.amdhsa_user_sgpr_dispatch_ptr 0
		.amdhsa_user_sgpr_queue_ptr 0
		.amdhsa_user_sgpr_kernarg_segment_ptr 1
		.amdhsa_user_sgpr_dispatch_id 0
		.amdhsa_user_sgpr_private_segment_size 0
		.amdhsa_wavefront_size32 1
		.amdhsa_uses_dynamic_stack 0
		.amdhsa_enable_private_segment 0
		.amdhsa_system_sgpr_workgroup_id_x 1
		.amdhsa_system_sgpr_workgroup_id_y 0
		.amdhsa_system_sgpr_workgroup_id_z 0
		.amdhsa_system_sgpr_workgroup_info 0
		.amdhsa_system_vgpr_workitem_id 0
		.amdhsa_next_free_vgpr 1
		.amdhsa_next_free_sgpr 1
		.amdhsa_reserve_vcc 0
		.amdhsa_float_round_mode_32 0
		.amdhsa_float_round_mode_16_64 0
		.amdhsa_float_denorm_mode_32 3
		.amdhsa_float_denorm_mode_16_64 3
		.amdhsa_dx10_clamp 1
		.amdhsa_ieee_mode 1
		.amdhsa_fp16_overflow 0
		.amdhsa_workgroup_processor_mode 1
		.amdhsa_memory_ordered 1
		.amdhsa_forward_progress 0
		.amdhsa_shared_vgpr_count 0
		.amdhsa_exception_fp_ieee_invalid_op 0
		.amdhsa_exception_fp_denorm_src 0
		.amdhsa_exception_fp_ieee_div_zero 0
		.amdhsa_exception_fp_ieee_overflow 0
		.amdhsa_exception_fp_ieee_underflow 0
		.amdhsa_exception_fp_ieee_inexact 0
		.amdhsa_exception_int_div_zero 0
	.end_amdhsa_kernel
	.section	.text._ZN7rocprim17ROCPRIM_400000_NS6detail17trampoline_kernelINS0_14default_configENS1_20scan_config_selectorIiEEZZNS1_9scan_implILNS1_25lookback_scan_determinismE0ELb0ELb0ES3_N6thrust23THRUST_200600_302600_NS6detail15normal_iteratorINS9_10device_ptrIiEEEESE_iNS9_4plusIvEEiEEDaPvRmT3_T4_T5_mT6_P12ihipStream_tbENKUlT_T0_E_clISt17integral_constantIbLb0EESU_EEDaSP_SQ_EUlSP_E0_NS1_11comp_targetILNS1_3genE3ELNS1_11target_archE908ELNS1_3gpuE7ELNS1_3repE0EEENS1_30default_config_static_selectorELNS0_4arch9wavefront6targetE0EEEvT1_,"axG",@progbits,_ZN7rocprim17ROCPRIM_400000_NS6detail17trampoline_kernelINS0_14default_configENS1_20scan_config_selectorIiEEZZNS1_9scan_implILNS1_25lookback_scan_determinismE0ELb0ELb0ES3_N6thrust23THRUST_200600_302600_NS6detail15normal_iteratorINS9_10device_ptrIiEEEESE_iNS9_4plusIvEEiEEDaPvRmT3_T4_T5_mT6_P12ihipStream_tbENKUlT_T0_E_clISt17integral_constantIbLb0EESU_EEDaSP_SQ_EUlSP_E0_NS1_11comp_targetILNS1_3genE3ELNS1_11target_archE908ELNS1_3gpuE7ELNS1_3repE0EEENS1_30default_config_static_selectorELNS0_4arch9wavefront6targetE0EEEvT1_,comdat
.Lfunc_end23:
	.size	_ZN7rocprim17ROCPRIM_400000_NS6detail17trampoline_kernelINS0_14default_configENS1_20scan_config_selectorIiEEZZNS1_9scan_implILNS1_25lookback_scan_determinismE0ELb0ELb0ES3_N6thrust23THRUST_200600_302600_NS6detail15normal_iteratorINS9_10device_ptrIiEEEESE_iNS9_4plusIvEEiEEDaPvRmT3_T4_T5_mT6_P12ihipStream_tbENKUlT_T0_E_clISt17integral_constantIbLb0EESU_EEDaSP_SQ_EUlSP_E0_NS1_11comp_targetILNS1_3genE3ELNS1_11target_archE908ELNS1_3gpuE7ELNS1_3repE0EEENS1_30default_config_static_selectorELNS0_4arch9wavefront6targetE0EEEvT1_, .Lfunc_end23-_ZN7rocprim17ROCPRIM_400000_NS6detail17trampoline_kernelINS0_14default_configENS1_20scan_config_selectorIiEEZZNS1_9scan_implILNS1_25lookback_scan_determinismE0ELb0ELb0ES3_N6thrust23THRUST_200600_302600_NS6detail15normal_iteratorINS9_10device_ptrIiEEEESE_iNS9_4plusIvEEiEEDaPvRmT3_T4_T5_mT6_P12ihipStream_tbENKUlT_T0_E_clISt17integral_constantIbLb0EESU_EEDaSP_SQ_EUlSP_E0_NS1_11comp_targetILNS1_3genE3ELNS1_11target_archE908ELNS1_3gpuE7ELNS1_3repE0EEENS1_30default_config_static_selectorELNS0_4arch9wavefront6targetE0EEEvT1_
                                        ; -- End function
	.section	.AMDGPU.csdata,"",@progbits
; Kernel info:
; codeLenInByte = 0
; NumSgprs: 0
; NumVgprs: 0
; ScratchSize: 0
; MemoryBound: 0
; FloatMode: 240
; IeeeMode: 1
; LDSByteSize: 0 bytes/workgroup (compile time only)
; SGPRBlocks: 0
; VGPRBlocks: 0
; NumSGPRsForWavesPerEU: 1
; NumVGPRsForWavesPerEU: 1
; Occupancy: 16
; WaveLimiterHint : 0
; COMPUTE_PGM_RSRC2:SCRATCH_EN: 0
; COMPUTE_PGM_RSRC2:USER_SGPR: 15
; COMPUTE_PGM_RSRC2:TRAP_HANDLER: 0
; COMPUTE_PGM_RSRC2:TGID_X_EN: 1
; COMPUTE_PGM_RSRC2:TGID_Y_EN: 0
; COMPUTE_PGM_RSRC2:TGID_Z_EN: 0
; COMPUTE_PGM_RSRC2:TIDIG_COMP_CNT: 0
	.section	.text._ZN7rocprim17ROCPRIM_400000_NS6detail17trampoline_kernelINS0_14default_configENS1_20scan_config_selectorIiEEZZNS1_9scan_implILNS1_25lookback_scan_determinismE0ELb0ELb0ES3_N6thrust23THRUST_200600_302600_NS6detail15normal_iteratorINS9_10device_ptrIiEEEESE_iNS9_4plusIvEEiEEDaPvRmT3_T4_T5_mT6_P12ihipStream_tbENKUlT_T0_E_clISt17integral_constantIbLb0EESU_EEDaSP_SQ_EUlSP_E0_NS1_11comp_targetILNS1_3genE2ELNS1_11target_archE906ELNS1_3gpuE6ELNS1_3repE0EEENS1_30default_config_static_selectorELNS0_4arch9wavefront6targetE0EEEvT1_,"axG",@progbits,_ZN7rocprim17ROCPRIM_400000_NS6detail17trampoline_kernelINS0_14default_configENS1_20scan_config_selectorIiEEZZNS1_9scan_implILNS1_25lookback_scan_determinismE0ELb0ELb0ES3_N6thrust23THRUST_200600_302600_NS6detail15normal_iteratorINS9_10device_ptrIiEEEESE_iNS9_4plusIvEEiEEDaPvRmT3_T4_T5_mT6_P12ihipStream_tbENKUlT_T0_E_clISt17integral_constantIbLb0EESU_EEDaSP_SQ_EUlSP_E0_NS1_11comp_targetILNS1_3genE2ELNS1_11target_archE906ELNS1_3gpuE6ELNS1_3repE0EEENS1_30default_config_static_selectorELNS0_4arch9wavefront6targetE0EEEvT1_,comdat
	.protected	_ZN7rocprim17ROCPRIM_400000_NS6detail17trampoline_kernelINS0_14default_configENS1_20scan_config_selectorIiEEZZNS1_9scan_implILNS1_25lookback_scan_determinismE0ELb0ELb0ES3_N6thrust23THRUST_200600_302600_NS6detail15normal_iteratorINS9_10device_ptrIiEEEESE_iNS9_4plusIvEEiEEDaPvRmT3_T4_T5_mT6_P12ihipStream_tbENKUlT_T0_E_clISt17integral_constantIbLb0EESU_EEDaSP_SQ_EUlSP_E0_NS1_11comp_targetILNS1_3genE2ELNS1_11target_archE906ELNS1_3gpuE6ELNS1_3repE0EEENS1_30default_config_static_selectorELNS0_4arch9wavefront6targetE0EEEvT1_ ; -- Begin function _ZN7rocprim17ROCPRIM_400000_NS6detail17trampoline_kernelINS0_14default_configENS1_20scan_config_selectorIiEEZZNS1_9scan_implILNS1_25lookback_scan_determinismE0ELb0ELb0ES3_N6thrust23THRUST_200600_302600_NS6detail15normal_iteratorINS9_10device_ptrIiEEEESE_iNS9_4plusIvEEiEEDaPvRmT3_T4_T5_mT6_P12ihipStream_tbENKUlT_T0_E_clISt17integral_constantIbLb0EESU_EEDaSP_SQ_EUlSP_E0_NS1_11comp_targetILNS1_3genE2ELNS1_11target_archE906ELNS1_3gpuE6ELNS1_3repE0EEENS1_30default_config_static_selectorELNS0_4arch9wavefront6targetE0EEEvT1_
	.globl	_ZN7rocprim17ROCPRIM_400000_NS6detail17trampoline_kernelINS0_14default_configENS1_20scan_config_selectorIiEEZZNS1_9scan_implILNS1_25lookback_scan_determinismE0ELb0ELb0ES3_N6thrust23THRUST_200600_302600_NS6detail15normal_iteratorINS9_10device_ptrIiEEEESE_iNS9_4plusIvEEiEEDaPvRmT3_T4_T5_mT6_P12ihipStream_tbENKUlT_T0_E_clISt17integral_constantIbLb0EESU_EEDaSP_SQ_EUlSP_E0_NS1_11comp_targetILNS1_3genE2ELNS1_11target_archE906ELNS1_3gpuE6ELNS1_3repE0EEENS1_30default_config_static_selectorELNS0_4arch9wavefront6targetE0EEEvT1_
	.p2align	8
	.type	_ZN7rocprim17ROCPRIM_400000_NS6detail17trampoline_kernelINS0_14default_configENS1_20scan_config_selectorIiEEZZNS1_9scan_implILNS1_25lookback_scan_determinismE0ELb0ELb0ES3_N6thrust23THRUST_200600_302600_NS6detail15normal_iteratorINS9_10device_ptrIiEEEESE_iNS9_4plusIvEEiEEDaPvRmT3_T4_T5_mT6_P12ihipStream_tbENKUlT_T0_E_clISt17integral_constantIbLb0EESU_EEDaSP_SQ_EUlSP_E0_NS1_11comp_targetILNS1_3genE2ELNS1_11target_archE906ELNS1_3gpuE6ELNS1_3repE0EEENS1_30default_config_static_selectorELNS0_4arch9wavefront6targetE0EEEvT1_,@function
_ZN7rocprim17ROCPRIM_400000_NS6detail17trampoline_kernelINS0_14default_configENS1_20scan_config_selectorIiEEZZNS1_9scan_implILNS1_25lookback_scan_determinismE0ELb0ELb0ES3_N6thrust23THRUST_200600_302600_NS6detail15normal_iteratorINS9_10device_ptrIiEEEESE_iNS9_4plusIvEEiEEDaPvRmT3_T4_T5_mT6_P12ihipStream_tbENKUlT_T0_E_clISt17integral_constantIbLb0EESU_EEDaSP_SQ_EUlSP_E0_NS1_11comp_targetILNS1_3genE2ELNS1_11target_archE906ELNS1_3gpuE6ELNS1_3repE0EEENS1_30default_config_static_selectorELNS0_4arch9wavefront6targetE0EEEvT1_: ; @_ZN7rocprim17ROCPRIM_400000_NS6detail17trampoline_kernelINS0_14default_configENS1_20scan_config_selectorIiEEZZNS1_9scan_implILNS1_25lookback_scan_determinismE0ELb0ELb0ES3_N6thrust23THRUST_200600_302600_NS6detail15normal_iteratorINS9_10device_ptrIiEEEESE_iNS9_4plusIvEEiEEDaPvRmT3_T4_T5_mT6_P12ihipStream_tbENKUlT_T0_E_clISt17integral_constantIbLb0EESU_EEDaSP_SQ_EUlSP_E0_NS1_11comp_targetILNS1_3genE2ELNS1_11target_archE906ELNS1_3gpuE6ELNS1_3repE0EEENS1_30default_config_static_selectorELNS0_4arch9wavefront6targetE0EEEvT1_
; %bb.0:
	.section	.rodata,"a",@progbits
	.p2align	6, 0x0
	.amdhsa_kernel _ZN7rocprim17ROCPRIM_400000_NS6detail17trampoline_kernelINS0_14default_configENS1_20scan_config_selectorIiEEZZNS1_9scan_implILNS1_25lookback_scan_determinismE0ELb0ELb0ES3_N6thrust23THRUST_200600_302600_NS6detail15normal_iteratorINS9_10device_ptrIiEEEESE_iNS9_4plusIvEEiEEDaPvRmT3_T4_T5_mT6_P12ihipStream_tbENKUlT_T0_E_clISt17integral_constantIbLb0EESU_EEDaSP_SQ_EUlSP_E0_NS1_11comp_targetILNS1_3genE2ELNS1_11target_archE906ELNS1_3gpuE6ELNS1_3repE0EEENS1_30default_config_static_selectorELNS0_4arch9wavefront6targetE0EEEvT1_
		.amdhsa_group_segment_fixed_size 0
		.amdhsa_private_segment_fixed_size 0
		.amdhsa_kernarg_size 32
		.amdhsa_user_sgpr_count 15
		.amdhsa_user_sgpr_dispatch_ptr 0
		.amdhsa_user_sgpr_queue_ptr 0
		.amdhsa_user_sgpr_kernarg_segment_ptr 1
		.amdhsa_user_sgpr_dispatch_id 0
		.amdhsa_user_sgpr_private_segment_size 0
		.amdhsa_wavefront_size32 1
		.amdhsa_uses_dynamic_stack 0
		.amdhsa_enable_private_segment 0
		.amdhsa_system_sgpr_workgroup_id_x 1
		.amdhsa_system_sgpr_workgroup_id_y 0
		.amdhsa_system_sgpr_workgroup_id_z 0
		.amdhsa_system_sgpr_workgroup_info 0
		.amdhsa_system_vgpr_workitem_id 0
		.amdhsa_next_free_vgpr 1
		.amdhsa_next_free_sgpr 1
		.amdhsa_reserve_vcc 0
		.amdhsa_float_round_mode_32 0
		.amdhsa_float_round_mode_16_64 0
		.amdhsa_float_denorm_mode_32 3
		.amdhsa_float_denorm_mode_16_64 3
		.amdhsa_dx10_clamp 1
		.amdhsa_ieee_mode 1
		.amdhsa_fp16_overflow 0
		.amdhsa_workgroup_processor_mode 1
		.amdhsa_memory_ordered 1
		.amdhsa_forward_progress 0
		.amdhsa_shared_vgpr_count 0
		.amdhsa_exception_fp_ieee_invalid_op 0
		.amdhsa_exception_fp_denorm_src 0
		.amdhsa_exception_fp_ieee_div_zero 0
		.amdhsa_exception_fp_ieee_overflow 0
		.amdhsa_exception_fp_ieee_underflow 0
		.amdhsa_exception_fp_ieee_inexact 0
		.amdhsa_exception_int_div_zero 0
	.end_amdhsa_kernel
	.section	.text._ZN7rocprim17ROCPRIM_400000_NS6detail17trampoline_kernelINS0_14default_configENS1_20scan_config_selectorIiEEZZNS1_9scan_implILNS1_25lookback_scan_determinismE0ELb0ELb0ES3_N6thrust23THRUST_200600_302600_NS6detail15normal_iteratorINS9_10device_ptrIiEEEESE_iNS9_4plusIvEEiEEDaPvRmT3_T4_T5_mT6_P12ihipStream_tbENKUlT_T0_E_clISt17integral_constantIbLb0EESU_EEDaSP_SQ_EUlSP_E0_NS1_11comp_targetILNS1_3genE2ELNS1_11target_archE906ELNS1_3gpuE6ELNS1_3repE0EEENS1_30default_config_static_selectorELNS0_4arch9wavefront6targetE0EEEvT1_,"axG",@progbits,_ZN7rocprim17ROCPRIM_400000_NS6detail17trampoline_kernelINS0_14default_configENS1_20scan_config_selectorIiEEZZNS1_9scan_implILNS1_25lookback_scan_determinismE0ELb0ELb0ES3_N6thrust23THRUST_200600_302600_NS6detail15normal_iteratorINS9_10device_ptrIiEEEESE_iNS9_4plusIvEEiEEDaPvRmT3_T4_T5_mT6_P12ihipStream_tbENKUlT_T0_E_clISt17integral_constantIbLb0EESU_EEDaSP_SQ_EUlSP_E0_NS1_11comp_targetILNS1_3genE2ELNS1_11target_archE906ELNS1_3gpuE6ELNS1_3repE0EEENS1_30default_config_static_selectorELNS0_4arch9wavefront6targetE0EEEvT1_,comdat
.Lfunc_end24:
	.size	_ZN7rocprim17ROCPRIM_400000_NS6detail17trampoline_kernelINS0_14default_configENS1_20scan_config_selectorIiEEZZNS1_9scan_implILNS1_25lookback_scan_determinismE0ELb0ELb0ES3_N6thrust23THRUST_200600_302600_NS6detail15normal_iteratorINS9_10device_ptrIiEEEESE_iNS9_4plusIvEEiEEDaPvRmT3_T4_T5_mT6_P12ihipStream_tbENKUlT_T0_E_clISt17integral_constantIbLb0EESU_EEDaSP_SQ_EUlSP_E0_NS1_11comp_targetILNS1_3genE2ELNS1_11target_archE906ELNS1_3gpuE6ELNS1_3repE0EEENS1_30default_config_static_selectorELNS0_4arch9wavefront6targetE0EEEvT1_, .Lfunc_end24-_ZN7rocprim17ROCPRIM_400000_NS6detail17trampoline_kernelINS0_14default_configENS1_20scan_config_selectorIiEEZZNS1_9scan_implILNS1_25lookback_scan_determinismE0ELb0ELb0ES3_N6thrust23THRUST_200600_302600_NS6detail15normal_iteratorINS9_10device_ptrIiEEEESE_iNS9_4plusIvEEiEEDaPvRmT3_T4_T5_mT6_P12ihipStream_tbENKUlT_T0_E_clISt17integral_constantIbLb0EESU_EEDaSP_SQ_EUlSP_E0_NS1_11comp_targetILNS1_3genE2ELNS1_11target_archE906ELNS1_3gpuE6ELNS1_3repE0EEENS1_30default_config_static_selectorELNS0_4arch9wavefront6targetE0EEEvT1_
                                        ; -- End function
	.section	.AMDGPU.csdata,"",@progbits
; Kernel info:
; codeLenInByte = 0
; NumSgprs: 0
; NumVgprs: 0
; ScratchSize: 0
; MemoryBound: 0
; FloatMode: 240
; IeeeMode: 1
; LDSByteSize: 0 bytes/workgroup (compile time only)
; SGPRBlocks: 0
; VGPRBlocks: 0
; NumSGPRsForWavesPerEU: 1
; NumVGPRsForWavesPerEU: 1
; Occupancy: 16
; WaveLimiterHint : 0
; COMPUTE_PGM_RSRC2:SCRATCH_EN: 0
; COMPUTE_PGM_RSRC2:USER_SGPR: 15
; COMPUTE_PGM_RSRC2:TRAP_HANDLER: 0
; COMPUTE_PGM_RSRC2:TGID_X_EN: 1
; COMPUTE_PGM_RSRC2:TGID_Y_EN: 0
; COMPUTE_PGM_RSRC2:TGID_Z_EN: 0
; COMPUTE_PGM_RSRC2:TIDIG_COMP_CNT: 0
	.section	.text._ZN7rocprim17ROCPRIM_400000_NS6detail17trampoline_kernelINS0_14default_configENS1_20scan_config_selectorIiEEZZNS1_9scan_implILNS1_25lookback_scan_determinismE0ELb0ELb0ES3_N6thrust23THRUST_200600_302600_NS6detail15normal_iteratorINS9_10device_ptrIiEEEESE_iNS9_4plusIvEEiEEDaPvRmT3_T4_T5_mT6_P12ihipStream_tbENKUlT_T0_E_clISt17integral_constantIbLb0EESU_EEDaSP_SQ_EUlSP_E0_NS1_11comp_targetILNS1_3genE10ELNS1_11target_archE1201ELNS1_3gpuE5ELNS1_3repE0EEENS1_30default_config_static_selectorELNS0_4arch9wavefront6targetE0EEEvT1_,"axG",@progbits,_ZN7rocprim17ROCPRIM_400000_NS6detail17trampoline_kernelINS0_14default_configENS1_20scan_config_selectorIiEEZZNS1_9scan_implILNS1_25lookback_scan_determinismE0ELb0ELb0ES3_N6thrust23THRUST_200600_302600_NS6detail15normal_iteratorINS9_10device_ptrIiEEEESE_iNS9_4plusIvEEiEEDaPvRmT3_T4_T5_mT6_P12ihipStream_tbENKUlT_T0_E_clISt17integral_constantIbLb0EESU_EEDaSP_SQ_EUlSP_E0_NS1_11comp_targetILNS1_3genE10ELNS1_11target_archE1201ELNS1_3gpuE5ELNS1_3repE0EEENS1_30default_config_static_selectorELNS0_4arch9wavefront6targetE0EEEvT1_,comdat
	.protected	_ZN7rocprim17ROCPRIM_400000_NS6detail17trampoline_kernelINS0_14default_configENS1_20scan_config_selectorIiEEZZNS1_9scan_implILNS1_25lookback_scan_determinismE0ELb0ELb0ES3_N6thrust23THRUST_200600_302600_NS6detail15normal_iteratorINS9_10device_ptrIiEEEESE_iNS9_4plusIvEEiEEDaPvRmT3_T4_T5_mT6_P12ihipStream_tbENKUlT_T0_E_clISt17integral_constantIbLb0EESU_EEDaSP_SQ_EUlSP_E0_NS1_11comp_targetILNS1_3genE10ELNS1_11target_archE1201ELNS1_3gpuE5ELNS1_3repE0EEENS1_30default_config_static_selectorELNS0_4arch9wavefront6targetE0EEEvT1_ ; -- Begin function _ZN7rocprim17ROCPRIM_400000_NS6detail17trampoline_kernelINS0_14default_configENS1_20scan_config_selectorIiEEZZNS1_9scan_implILNS1_25lookback_scan_determinismE0ELb0ELb0ES3_N6thrust23THRUST_200600_302600_NS6detail15normal_iteratorINS9_10device_ptrIiEEEESE_iNS9_4plusIvEEiEEDaPvRmT3_T4_T5_mT6_P12ihipStream_tbENKUlT_T0_E_clISt17integral_constantIbLb0EESU_EEDaSP_SQ_EUlSP_E0_NS1_11comp_targetILNS1_3genE10ELNS1_11target_archE1201ELNS1_3gpuE5ELNS1_3repE0EEENS1_30default_config_static_selectorELNS0_4arch9wavefront6targetE0EEEvT1_
	.globl	_ZN7rocprim17ROCPRIM_400000_NS6detail17trampoline_kernelINS0_14default_configENS1_20scan_config_selectorIiEEZZNS1_9scan_implILNS1_25lookback_scan_determinismE0ELb0ELb0ES3_N6thrust23THRUST_200600_302600_NS6detail15normal_iteratorINS9_10device_ptrIiEEEESE_iNS9_4plusIvEEiEEDaPvRmT3_T4_T5_mT6_P12ihipStream_tbENKUlT_T0_E_clISt17integral_constantIbLb0EESU_EEDaSP_SQ_EUlSP_E0_NS1_11comp_targetILNS1_3genE10ELNS1_11target_archE1201ELNS1_3gpuE5ELNS1_3repE0EEENS1_30default_config_static_selectorELNS0_4arch9wavefront6targetE0EEEvT1_
	.p2align	8
	.type	_ZN7rocprim17ROCPRIM_400000_NS6detail17trampoline_kernelINS0_14default_configENS1_20scan_config_selectorIiEEZZNS1_9scan_implILNS1_25lookback_scan_determinismE0ELb0ELb0ES3_N6thrust23THRUST_200600_302600_NS6detail15normal_iteratorINS9_10device_ptrIiEEEESE_iNS9_4plusIvEEiEEDaPvRmT3_T4_T5_mT6_P12ihipStream_tbENKUlT_T0_E_clISt17integral_constantIbLb0EESU_EEDaSP_SQ_EUlSP_E0_NS1_11comp_targetILNS1_3genE10ELNS1_11target_archE1201ELNS1_3gpuE5ELNS1_3repE0EEENS1_30default_config_static_selectorELNS0_4arch9wavefront6targetE0EEEvT1_,@function
_ZN7rocprim17ROCPRIM_400000_NS6detail17trampoline_kernelINS0_14default_configENS1_20scan_config_selectorIiEEZZNS1_9scan_implILNS1_25lookback_scan_determinismE0ELb0ELb0ES3_N6thrust23THRUST_200600_302600_NS6detail15normal_iteratorINS9_10device_ptrIiEEEESE_iNS9_4plusIvEEiEEDaPvRmT3_T4_T5_mT6_P12ihipStream_tbENKUlT_T0_E_clISt17integral_constantIbLb0EESU_EEDaSP_SQ_EUlSP_E0_NS1_11comp_targetILNS1_3genE10ELNS1_11target_archE1201ELNS1_3gpuE5ELNS1_3repE0EEENS1_30default_config_static_selectorELNS0_4arch9wavefront6targetE0EEEvT1_: ; @_ZN7rocprim17ROCPRIM_400000_NS6detail17trampoline_kernelINS0_14default_configENS1_20scan_config_selectorIiEEZZNS1_9scan_implILNS1_25lookback_scan_determinismE0ELb0ELb0ES3_N6thrust23THRUST_200600_302600_NS6detail15normal_iteratorINS9_10device_ptrIiEEEESE_iNS9_4plusIvEEiEEDaPvRmT3_T4_T5_mT6_P12ihipStream_tbENKUlT_T0_E_clISt17integral_constantIbLb0EESU_EEDaSP_SQ_EUlSP_E0_NS1_11comp_targetILNS1_3genE10ELNS1_11target_archE1201ELNS1_3gpuE5ELNS1_3repE0EEENS1_30default_config_static_selectorELNS0_4arch9wavefront6targetE0EEEvT1_
; %bb.0:
	.section	.rodata,"a",@progbits
	.p2align	6, 0x0
	.amdhsa_kernel _ZN7rocprim17ROCPRIM_400000_NS6detail17trampoline_kernelINS0_14default_configENS1_20scan_config_selectorIiEEZZNS1_9scan_implILNS1_25lookback_scan_determinismE0ELb0ELb0ES3_N6thrust23THRUST_200600_302600_NS6detail15normal_iteratorINS9_10device_ptrIiEEEESE_iNS9_4plusIvEEiEEDaPvRmT3_T4_T5_mT6_P12ihipStream_tbENKUlT_T0_E_clISt17integral_constantIbLb0EESU_EEDaSP_SQ_EUlSP_E0_NS1_11comp_targetILNS1_3genE10ELNS1_11target_archE1201ELNS1_3gpuE5ELNS1_3repE0EEENS1_30default_config_static_selectorELNS0_4arch9wavefront6targetE0EEEvT1_
		.amdhsa_group_segment_fixed_size 0
		.amdhsa_private_segment_fixed_size 0
		.amdhsa_kernarg_size 32
		.amdhsa_user_sgpr_count 15
		.amdhsa_user_sgpr_dispatch_ptr 0
		.amdhsa_user_sgpr_queue_ptr 0
		.amdhsa_user_sgpr_kernarg_segment_ptr 1
		.amdhsa_user_sgpr_dispatch_id 0
		.amdhsa_user_sgpr_private_segment_size 0
		.amdhsa_wavefront_size32 1
		.amdhsa_uses_dynamic_stack 0
		.amdhsa_enable_private_segment 0
		.amdhsa_system_sgpr_workgroup_id_x 1
		.amdhsa_system_sgpr_workgroup_id_y 0
		.amdhsa_system_sgpr_workgroup_id_z 0
		.amdhsa_system_sgpr_workgroup_info 0
		.amdhsa_system_vgpr_workitem_id 0
		.amdhsa_next_free_vgpr 1
		.amdhsa_next_free_sgpr 1
		.amdhsa_reserve_vcc 0
		.amdhsa_float_round_mode_32 0
		.amdhsa_float_round_mode_16_64 0
		.amdhsa_float_denorm_mode_32 3
		.amdhsa_float_denorm_mode_16_64 3
		.amdhsa_dx10_clamp 1
		.amdhsa_ieee_mode 1
		.amdhsa_fp16_overflow 0
		.amdhsa_workgroup_processor_mode 1
		.amdhsa_memory_ordered 1
		.amdhsa_forward_progress 0
		.amdhsa_shared_vgpr_count 0
		.amdhsa_exception_fp_ieee_invalid_op 0
		.amdhsa_exception_fp_denorm_src 0
		.amdhsa_exception_fp_ieee_div_zero 0
		.amdhsa_exception_fp_ieee_overflow 0
		.amdhsa_exception_fp_ieee_underflow 0
		.amdhsa_exception_fp_ieee_inexact 0
		.amdhsa_exception_int_div_zero 0
	.end_amdhsa_kernel
	.section	.text._ZN7rocprim17ROCPRIM_400000_NS6detail17trampoline_kernelINS0_14default_configENS1_20scan_config_selectorIiEEZZNS1_9scan_implILNS1_25lookback_scan_determinismE0ELb0ELb0ES3_N6thrust23THRUST_200600_302600_NS6detail15normal_iteratorINS9_10device_ptrIiEEEESE_iNS9_4plusIvEEiEEDaPvRmT3_T4_T5_mT6_P12ihipStream_tbENKUlT_T0_E_clISt17integral_constantIbLb0EESU_EEDaSP_SQ_EUlSP_E0_NS1_11comp_targetILNS1_3genE10ELNS1_11target_archE1201ELNS1_3gpuE5ELNS1_3repE0EEENS1_30default_config_static_selectorELNS0_4arch9wavefront6targetE0EEEvT1_,"axG",@progbits,_ZN7rocprim17ROCPRIM_400000_NS6detail17trampoline_kernelINS0_14default_configENS1_20scan_config_selectorIiEEZZNS1_9scan_implILNS1_25lookback_scan_determinismE0ELb0ELb0ES3_N6thrust23THRUST_200600_302600_NS6detail15normal_iteratorINS9_10device_ptrIiEEEESE_iNS9_4plusIvEEiEEDaPvRmT3_T4_T5_mT6_P12ihipStream_tbENKUlT_T0_E_clISt17integral_constantIbLb0EESU_EEDaSP_SQ_EUlSP_E0_NS1_11comp_targetILNS1_3genE10ELNS1_11target_archE1201ELNS1_3gpuE5ELNS1_3repE0EEENS1_30default_config_static_selectorELNS0_4arch9wavefront6targetE0EEEvT1_,comdat
.Lfunc_end25:
	.size	_ZN7rocprim17ROCPRIM_400000_NS6detail17trampoline_kernelINS0_14default_configENS1_20scan_config_selectorIiEEZZNS1_9scan_implILNS1_25lookback_scan_determinismE0ELb0ELb0ES3_N6thrust23THRUST_200600_302600_NS6detail15normal_iteratorINS9_10device_ptrIiEEEESE_iNS9_4plusIvEEiEEDaPvRmT3_T4_T5_mT6_P12ihipStream_tbENKUlT_T0_E_clISt17integral_constantIbLb0EESU_EEDaSP_SQ_EUlSP_E0_NS1_11comp_targetILNS1_3genE10ELNS1_11target_archE1201ELNS1_3gpuE5ELNS1_3repE0EEENS1_30default_config_static_selectorELNS0_4arch9wavefront6targetE0EEEvT1_, .Lfunc_end25-_ZN7rocprim17ROCPRIM_400000_NS6detail17trampoline_kernelINS0_14default_configENS1_20scan_config_selectorIiEEZZNS1_9scan_implILNS1_25lookback_scan_determinismE0ELb0ELb0ES3_N6thrust23THRUST_200600_302600_NS6detail15normal_iteratorINS9_10device_ptrIiEEEESE_iNS9_4plusIvEEiEEDaPvRmT3_T4_T5_mT6_P12ihipStream_tbENKUlT_T0_E_clISt17integral_constantIbLb0EESU_EEDaSP_SQ_EUlSP_E0_NS1_11comp_targetILNS1_3genE10ELNS1_11target_archE1201ELNS1_3gpuE5ELNS1_3repE0EEENS1_30default_config_static_selectorELNS0_4arch9wavefront6targetE0EEEvT1_
                                        ; -- End function
	.section	.AMDGPU.csdata,"",@progbits
; Kernel info:
; codeLenInByte = 0
; NumSgprs: 0
; NumVgprs: 0
; ScratchSize: 0
; MemoryBound: 0
; FloatMode: 240
; IeeeMode: 1
; LDSByteSize: 0 bytes/workgroup (compile time only)
; SGPRBlocks: 0
; VGPRBlocks: 0
; NumSGPRsForWavesPerEU: 1
; NumVGPRsForWavesPerEU: 1
; Occupancy: 16
; WaveLimiterHint : 0
; COMPUTE_PGM_RSRC2:SCRATCH_EN: 0
; COMPUTE_PGM_RSRC2:USER_SGPR: 15
; COMPUTE_PGM_RSRC2:TRAP_HANDLER: 0
; COMPUTE_PGM_RSRC2:TGID_X_EN: 1
; COMPUTE_PGM_RSRC2:TGID_Y_EN: 0
; COMPUTE_PGM_RSRC2:TGID_Z_EN: 0
; COMPUTE_PGM_RSRC2:TIDIG_COMP_CNT: 0
	.section	.text._ZN7rocprim17ROCPRIM_400000_NS6detail17trampoline_kernelINS0_14default_configENS1_20scan_config_selectorIiEEZZNS1_9scan_implILNS1_25lookback_scan_determinismE0ELb0ELb0ES3_N6thrust23THRUST_200600_302600_NS6detail15normal_iteratorINS9_10device_ptrIiEEEESE_iNS9_4plusIvEEiEEDaPvRmT3_T4_T5_mT6_P12ihipStream_tbENKUlT_T0_E_clISt17integral_constantIbLb0EESU_EEDaSP_SQ_EUlSP_E0_NS1_11comp_targetILNS1_3genE10ELNS1_11target_archE1200ELNS1_3gpuE4ELNS1_3repE0EEENS1_30default_config_static_selectorELNS0_4arch9wavefront6targetE0EEEvT1_,"axG",@progbits,_ZN7rocprim17ROCPRIM_400000_NS6detail17trampoline_kernelINS0_14default_configENS1_20scan_config_selectorIiEEZZNS1_9scan_implILNS1_25lookback_scan_determinismE0ELb0ELb0ES3_N6thrust23THRUST_200600_302600_NS6detail15normal_iteratorINS9_10device_ptrIiEEEESE_iNS9_4plusIvEEiEEDaPvRmT3_T4_T5_mT6_P12ihipStream_tbENKUlT_T0_E_clISt17integral_constantIbLb0EESU_EEDaSP_SQ_EUlSP_E0_NS1_11comp_targetILNS1_3genE10ELNS1_11target_archE1200ELNS1_3gpuE4ELNS1_3repE0EEENS1_30default_config_static_selectorELNS0_4arch9wavefront6targetE0EEEvT1_,comdat
	.protected	_ZN7rocprim17ROCPRIM_400000_NS6detail17trampoline_kernelINS0_14default_configENS1_20scan_config_selectorIiEEZZNS1_9scan_implILNS1_25lookback_scan_determinismE0ELb0ELb0ES3_N6thrust23THRUST_200600_302600_NS6detail15normal_iteratorINS9_10device_ptrIiEEEESE_iNS9_4plusIvEEiEEDaPvRmT3_T4_T5_mT6_P12ihipStream_tbENKUlT_T0_E_clISt17integral_constantIbLb0EESU_EEDaSP_SQ_EUlSP_E0_NS1_11comp_targetILNS1_3genE10ELNS1_11target_archE1200ELNS1_3gpuE4ELNS1_3repE0EEENS1_30default_config_static_selectorELNS0_4arch9wavefront6targetE0EEEvT1_ ; -- Begin function _ZN7rocprim17ROCPRIM_400000_NS6detail17trampoline_kernelINS0_14default_configENS1_20scan_config_selectorIiEEZZNS1_9scan_implILNS1_25lookback_scan_determinismE0ELb0ELb0ES3_N6thrust23THRUST_200600_302600_NS6detail15normal_iteratorINS9_10device_ptrIiEEEESE_iNS9_4plusIvEEiEEDaPvRmT3_T4_T5_mT6_P12ihipStream_tbENKUlT_T0_E_clISt17integral_constantIbLb0EESU_EEDaSP_SQ_EUlSP_E0_NS1_11comp_targetILNS1_3genE10ELNS1_11target_archE1200ELNS1_3gpuE4ELNS1_3repE0EEENS1_30default_config_static_selectorELNS0_4arch9wavefront6targetE0EEEvT1_
	.globl	_ZN7rocprim17ROCPRIM_400000_NS6detail17trampoline_kernelINS0_14default_configENS1_20scan_config_selectorIiEEZZNS1_9scan_implILNS1_25lookback_scan_determinismE0ELb0ELb0ES3_N6thrust23THRUST_200600_302600_NS6detail15normal_iteratorINS9_10device_ptrIiEEEESE_iNS9_4plusIvEEiEEDaPvRmT3_T4_T5_mT6_P12ihipStream_tbENKUlT_T0_E_clISt17integral_constantIbLb0EESU_EEDaSP_SQ_EUlSP_E0_NS1_11comp_targetILNS1_3genE10ELNS1_11target_archE1200ELNS1_3gpuE4ELNS1_3repE0EEENS1_30default_config_static_selectorELNS0_4arch9wavefront6targetE0EEEvT1_
	.p2align	8
	.type	_ZN7rocprim17ROCPRIM_400000_NS6detail17trampoline_kernelINS0_14default_configENS1_20scan_config_selectorIiEEZZNS1_9scan_implILNS1_25lookback_scan_determinismE0ELb0ELb0ES3_N6thrust23THRUST_200600_302600_NS6detail15normal_iteratorINS9_10device_ptrIiEEEESE_iNS9_4plusIvEEiEEDaPvRmT3_T4_T5_mT6_P12ihipStream_tbENKUlT_T0_E_clISt17integral_constantIbLb0EESU_EEDaSP_SQ_EUlSP_E0_NS1_11comp_targetILNS1_3genE10ELNS1_11target_archE1200ELNS1_3gpuE4ELNS1_3repE0EEENS1_30default_config_static_selectorELNS0_4arch9wavefront6targetE0EEEvT1_,@function
_ZN7rocprim17ROCPRIM_400000_NS6detail17trampoline_kernelINS0_14default_configENS1_20scan_config_selectorIiEEZZNS1_9scan_implILNS1_25lookback_scan_determinismE0ELb0ELb0ES3_N6thrust23THRUST_200600_302600_NS6detail15normal_iteratorINS9_10device_ptrIiEEEESE_iNS9_4plusIvEEiEEDaPvRmT3_T4_T5_mT6_P12ihipStream_tbENKUlT_T0_E_clISt17integral_constantIbLb0EESU_EEDaSP_SQ_EUlSP_E0_NS1_11comp_targetILNS1_3genE10ELNS1_11target_archE1200ELNS1_3gpuE4ELNS1_3repE0EEENS1_30default_config_static_selectorELNS0_4arch9wavefront6targetE0EEEvT1_: ; @_ZN7rocprim17ROCPRIM_400000_NS6detail17trampoline_kernelINS0_14default_configENS1_20scan_config_selectorIiEEZZNS1_9scan_implILNS1_25lookback_scan_determinismE0ELb0ELb0ES3_N6thrust23THRUST_200600_302600_NS6detail15normal_iteratorINS9_10device_ptrIiEEEESE_iNS9_4plusIvEEiEEDaPvRmT3_T4_T5_mT6_P12ihipStream_tbENKUlT_T0_E_clISt17integral_constantIbLb0EESU_EEDaSP_SQ_EUlSP_E0_NS1_11comp_targetILNS1_3genE10ELNS1_11target_archE1200ELNS1_3gpuE4ELNS1_3repE0EEENS1_30default_config_static_selectorELNS0_4arch9wavefront6targetE0EEEvT1_
; %bb.0:
	.section	.rodata,"a",@progbits
	.p2align	6, 0x0
	.amdhsa_kernel _ZN7rocprim17ROCPRIM_400000_NS6detail17trampoline_kernelINS0_14default_configENS1_20scan_config_selectorIiEEZZNS1_9scan_implILNS1_25lookback_scan_determinismE0ELb0ELb0ES3_N6thrust23THRUST_200600_302600_NS6detail15normal_iteratorINS9_10device_ptrIiEEEESE_iNS9_4plusIvEEiEEDaPvRmT3_T4_T5_mT6_P12ihipStream_tbENKUlT_T0_E_clISt17integral_constantIbLb0EESU_EEDaSP_SQ_EUlSP_E0_NS1_11comp_targetILNS1_3genE10ELNS1_11target_archE1200ELNS1_3gpuE4ELNS1_3repE0EEENS1_30default_config_static_selectorELNS0_4arch9wavefront6targetE0EEEvT1_
		.amdhsa_group_segment_fixed_size 0
		.amdhsa_private_segment_fixed_size 0
		.amdhsa_kernarg_size 32
		.amdhsa_user_sgpr_count 15
		.amdhsa_user_sgpr_dispatch_ptr 0
		.amdhsa_user_sgpr_queue_ptr 0
		.amdhsa_user_sgpr_kernarg_segment_ptr 1
		.amdhsa_user_sgpr_dispatch_id 0
		.amdhsa_user_sgpr_private_segment_size 0
		.amdhsa_wavefront_size32 1
		.amdhsa_uses_dynamic_stack 0
		.amdhsa_enable_private_segment 0
		.amdhsa_system_sgpr_workgroup_id_x 1
		.amdhsa_system_sgpr_workgroup_id_y 0
		.amdhsa_system_sgpr_workgroup_id_z 0
		.amdhsa_system_sgpr_workgroup_info 0
		.amdhsa_system_vgpr_workitem_id 0
		.amdhsa_next_free_vgpr 1
		.amdhsa_next_free_sgpr 1
		.amdhsa_reserve_vcc 0
		.amdhsa_float_round_mode_32 0
		.amdhsa_float_round_mode_16_64 0
		.amdhsa_float_denorm_mode_32 3
		.amdhsa_float_denorm_mode_16_64 3
		.amdhsa_dx10_clamp 1
		.amdhsa_ieee_mode 1
		.amdhsa_fp16_overflow 0
		.amdhsa_workgroup_processor_mode 1
		.amdhsa_memory_ordered 1
		.amdhsa_forward_progress 0
		.amdhsa_shared_vgpr_count 0
		.amdhsa_exception_fp_ieee_invalid_op 0
		.amdhsa_exception_fp_denorm_src 0
		.amdhsa_exception_fp_ieee_div_zero 0
		.amdhsa_exception_fp_ieee_overflow 0
		.amdhsa_exception_fp_ieee_underflow 0
		.amdhsa_exception_fp_ieee_inexact 0
		.amdhsa_exception_int_div_zero 0
	.end_amdhsa_kernel
	.section	.text._ZN7rocprim17ROCPRIM_400000_NS6detail17trampoline_kernelINS0_14default_configENS1_20scan_config_selectorIiEEZZNS1_9scan_implILNS1_25lookback_scan_determinismE0ELb0ELb0ES3_N6thrust23THRUST_200600_302600_NS6detail15normal_iteratorINS9_10device_ptrIiEEEESE_iNS9_4plusIvEEiEEDaPvRmT3_T4_T5_mT6_P12ihipStream_tbENKUlT_T0_E_clISt17integral_constantIbLb0EESU_EEDaSP_SQ_EUlSP_E0_NS1_11comp_targetILNS1_3genE10ELNS1_11target_archE1200ELNS1_3gpuE4ELNS1_3repE0EEENS1_30default_config_static_selectorELNS0_4arch9wavefront6targetE0EEEvT1_,"axG",@progbits,_ZN7rocprim17ROCPRIM_400000_NS6detail17trampoline_kernelINS0_14default_configENS1_20scan_config_selectorIiEEZZNS1_9scan_implILNS1_25lookback_scan_determinismE0ELb0ELb0ES3_N6thrust23THRUST_200600_302600_NS6detail15normal_iteratorINS9_10device_ptrIiEEEESE_iNS9_4plusIvEEiEEDaPvRmT3_T4_T5_mT6_P12ihipStream_tbENKUlT_T0_E_clISt17integral_constantIbLb0EESU_EEDaSP_SQ_EUlSP_E0_NS1_11comp_targetILNS1_3genE10ELNS1_11target_archE1200ELNS1_3gpuE4ELNS1_3repE0EEENS1_30default_config_static_selectorELNS0_4arch9wavefront6targetE0EEEvT1_,comdat
.Lfunc_end26:
	.size	_ZN7rocprim17ROCPRIM_400000_NS6detail17trampoline_kernelINS0_14default_configENS1_20scan_config_selectorIiEEZZNS1_9scan_implILNS1_25lookback_scan_determinismE0ELb0ELb0ES3_N6thrust23THRUST_200600_302600_NS6detail15normal_iteratorINS9_10device_ptrIiEEEESE_iNS9_4plusIvEEiEEDaPvRmT3_T4_T5_mT6_P12ihipStream_tbENKUlT_T0_E_clISt17integral_constantIbLb0EESU_EEDaSP_SQ_EUlSP_E0_NS1_11comp_targetILNS1_3genE10ELNS1_11target_archE1200ELNS1_3gpuE4ELNS1_3repE0EEENS1_30default_config_static_selectorELNS0_4arch9wavefront6targetE0EEEvT1_, .Lfunc_end26-_ZN7rocprim17ROCPRIM_400000_NS6detail17trampoline_kernelINS0_14default_configENS1_20scan_config_selectorIiEEZZNS1_9scan_implILNS1_25lookback_scan_determinismE0ELb0ELb0ES3_N6thrust23THRUST_200600_302600_NS6detail15normal_iteratorINS9_10device_ptrIiEEEESE_iNS9_4plusIvEEiEEDaPvRmT3_T4_T5_mT6_P12ihipStream_tbENKUlT_T0_E_clISt17integral_constantIbLb0EESU_EEDaSP_SQ_EUlSP_E0_NS1_11comp_targetILNS1_3genE10ELNS1_11target_archE1200ELNS1_3gpuE4ELNS1_3repE0EEENS1_30default_config_static_selectorELNS0_4arch9wavefront6targetE0EEEvT1_
                                        ; -- End function
	.section	.AMDGPU.csdata,"",@progbits
; Kernel info:
; codeLenInByte = 0
; NumSgprs: 0
; NumVgprs: 0
; ScratchSize: 0
; MemoryBound: 0
; FloatMode: 240
; IeeeMode: 1
; LDSByteSize: 0 bytes/workgroup (compile time only)
; SGPRBlocks: 0
; VGPRBlocks: 0
; NumSGPRsForWavesPerEU: 1
; NumVGPRsForWavesPerEU: 1
; Occupancy: 16
; WaveLimiterHint : 0
; COMPUTE_PGM_RSRC2:SCRATCH_EN: 0
; COMPUTE_PGM_RSRC2:USER_SGPR: 15
; COMPUTE_PGM_RSRC2:TRAP_HANDLER: 0
; COMPUTE_PGM_RSRC2:TGID_X_EN: 1
; COMPUTE_PGM_RSRC2:TGID_Y_EN: 0
; COMPUTE_PGM_RSRC2:TGID_Z_EN: 0
; COMPUTE_PGM_RSRC2:TIDIG_COMP_CNT: 0
	.section	.text._ZN7rocprim17ROCPRIM_400000_NS6detail17trampoline_kernelINS0_14default_configENS1_20scan_config_selectorIiEEZZNS1_9scan_implILNS1_25lookback_scan_determinismE0ELb0ELb0ES3_N6thrust23THRUST_200600_302600_NS6detail15normal_iteratorINS9_10device_ptrIiEEEESE_iNS9_4plusIvEEiEEDaPvRmT3_T4_T5_mT6_P12ihipStream_tbENKUlT_T0_E_clISt17integral_constantIbLb0EESU_EEDaSP_SQ_EUlSP_E0_NS1_11comp_targetILNS1_3genE9ELNS1_11target_archE1100ELNS1_3gpuE3ELNS1_3repE0EEENS1_30default_config_static_selectorELNS0_4arch9wavefront6targetE0EEEvT1_,"axG",@progbits,_ZN7rocprim17ROCPRIM_400000_NS6detail17trampoline_kernelINS0_14default_configENS1_20scan_config_selectorIiEEZZNS1_9scan_implILNS1_25lookback_scan_determinismE0ELb0ELb0ES3_N6thrust23THRUST_200600_302600_NS6detail15normal_iteratorINS9_10device_ptrIiEEEESE_iNS9_4plusIvEEiEEDaPvRmT3_T4_T5_mT6_P12ihipStream_tbENKUlT_T0_E_clISt17integral_constantIbLb0EESU_EEDaSP_SQ_EUlSP_E0_NS1_11comp_targetILNS1_3genE9ELNS1_11target_archE1100ELNS1_3gpuE3ELNS1_3repE0EEENS1_30default_config_static_selectorELNS0_4arch9wavefront6targetE0EEEvT1_,comdat
	.protected	_ZN7rocprim17ROCPRIM_400000_NS6detail17trampoline_kernelINS0_14default_configENS1_20scan_config_selectorIiEEZZNS1_9scan_implILNS1_25lookback_scan_determinismE0ELb0ELb0ES3_N6thrust23THRUST_200600_302600_NS6detail15normal_iteratorINS9_10device_ptrIiEEEESE_iNS9_4plusIvEEiEEDaPvRmT3_T4_T5_mT6_P12ihipStream_tbENKUlT_T0_E_clISt17integral_constantIbLb0EESU_EEDaSP_SQ_EUlSP_E0_NS1_11comp_targetILNS1_3genE9ELNS1_11target_archE1100ELNS1_3gpuE3ELNS1_3repE0EEENS1_30default_config_static_selectorELNS0_4arch9wavefront6targetE0EEEvT1_ ; -- Begin function _ZN7rocprim17ROCPRIM_400000_NS6detail17trampoline_kernelINS0_14default_configENS1_20scan_config_selectorIiEEZZNS1_9scan_implILNS1_25lookback_scan_determinismE0ELb0ELb0ES3_N6thrust23THRUST_200600_302600_NS6detail15normal_iteratorINS9_10device_ptrIiEEEESE_iNS9_4plusIvEEiEEDaPvRmT3_T4_T5_mT6_P12ihipStream_tbENKUlT_T0_E_clISt17integral_constantIbLb0EESU_EEDaSP_SQ_EUlSP_E0_NS1_11comp_targetILNS1_3genE9ELNS1_11target_archE1100ELNS1_3gpuE3ELNS1_3repE0EEENS1_30default_config_static_selectorELNS0_4arch9wavefront6targetE0EEEvT1_
	.globl	_ZN7rocprim17ROCPRIM_400000_NS6detail17trampoline_kernelINS0_14default_configENS1_20scan_config_selectorIiEEZZNS1_9scan_implILNS1_25lookback_scan_determinismE0ELb0ELb0ES3_N6thrust23THRUST_200600_302600_NS6detail15normal_iteratorINS9_10device_ptrIiEEEESE_iNS9_4plusIvEEiEEDaPvRmT3_T4_T5_mT6_P12ihipStream_tbENKUlT_T0_E_clISt17integral_constantIbLb0EESU_EEDaSP_SQ_EUlSP_E0_NS1_11comp_targetILNS1_3genE9ELNS1_11target_archE1100ELNS1_3gpuE3ELNS1_3repE0EEENS1_30default_config_static_selectorELNS0_4arch9wavefront6targetE0EEEvT1_
	.p2align	8
	.type	_ZN7rocprim17ROCPRIM_400000_NS6detail17trampoline_kernelINS0_14default_configENS1_20scan_config_selectorIiEEZZNS1_9scan_implILNS1_25lookback_scan_determinismE0ELb0ELb0ES3_N6thrust23THRUST_200600_302600_NS6detail15normal_iteratorINS9_10device_ptrIiEEEESE_iNS9_4plusIvEEiEEDaPvRmT3_T4_T5_mT6_P12ihipStream_tbENKUlT_T0_E_clISt17integral_constantIbLb0EESU_EEDaSP_SQ_EUlSP_E0_NS1_11comp_targetILNS1_3genE9ELNS1_11target_archE1100ELNS1_3gpuE3ELNS1_3repE0EEENS1_30default_config_static_selectorELNS0_4arch9wavefront6targetE0EEEvT1_,@function
_ZN7rocprim17ROCPRIM_400000_NS6detail17trampoline_kernelINS0_14default_configENS1_20scan_config_selectorIiEEZZNS1_9scan_implILNS1_25lookback_scan_determinismE0ELb0ELb0ES3_N6thrust23THRUST_200600_302600_NS6detail15normal_iteratorINS9_10device_ptrIiEEEESE_iNS9_4plusIvEEiEEDaPvRmT3_T4_T5_mT6_P12ihipStream_tbENKUlT_T0_E_clISt17integral_constantIbLb0EESU_EEDaSP_SQ_EUlSP_E0_NS1_11comp_targetILNS1_3genE9ELNS1_11target_archE1100ELNS1_3gpuE3ELNS1_3repE0EEENS1_30default_config_static_selectorELNS0_4arch9wavefront6targetE0EEEvT1_: ; @_ZN7rocprim17ROCPRIM_400000_NS6detail17trampoline_kernelINS0_14default_configENS1_20scan_config_selectorIiEEZZNS1_9scan_implILNS1_25lookback_scan_determinismE0ELb0ELb0ES3_N6thrust23THRUST_200600_302600_NS6detail15normal_iteratorINS9_10device_ptrIiEEEESE_iNS9_4plusIvEEiEEDaPvRmT3_T4_T5_mT6_P12ihipStream_tbENKUlT_T0_E_clISt17integral_constantIbLb0EESU_EEDaSP_SQ_EUlSP_E0_NS1_11comp_targetILNS1_3genE9ELNS1_11target_archE1100ELNS1_3gpuE3ELNS1_3repE0EEENS1_30default_config_static_selectorELNS0_4arch9wavefront6targetE0EEEvT1_
; %bb.0:
	s_load_b128 s[8:11], s[0:1], 0x0
	v_lshlrev_b32_e32 v5, 2, v0
	s_waitcnt lgkmcnt(0)
	s_load_b32 s4, s[8:9], 0x0
	v_cmp_gt_u32_e32 vcc_lo, s10, v0
	s_waitcnt lgkmcnt(0)
	s_mov_b32 s5, s4
	s_mov_b32 s6, s4
	;; [unrolled: 1-line block ×3, first 2 shown]
	s_delay_alu instid0(SALU_CYCLE_1)
	v_dual_mov_b32 v1, s4 :: v_dual_mov_b32 v4, s7
	v_dual_mov_b32 v11, s4 :: v_dual_mov_b32 v2, s5
	v_mov_b32_e32 v3, s6
	s_and_saveexec_b32 s2, vcc_lo
	s_cbranch_execz .LBB27_2
; %bb.1:
	global_load_b32 v11, v5, s[8:9]
	v_dual_mov_b32 v1, s4 :: v_dual_mov_b32 v2, s5
	v_dual_mov_b32 v3, s6 :: v_dual_mov_b32 v4, s7
                                        ; kill: def $vgpr1 killed $vgpr11 killed $exec
.LBB27_2:
	s_or_b32 exec_lo, exec_lo, s2
	v_or_b32_e32 v1, 0x100, v0
	s_delay_alu instid0(VALU_DEP_1) | instskip(NEXT) | instid1(VALU_DEP_1)
	v_cmp_gt_u32_e64 s2, s10, v1
	s_and_saveexec_b32 s3, s2
	s_cbranch_execz .LBB27_4
; %bb.3:
	global_load_b32 v2, v5, s[8:9] offset:1024
.LBB27_4:
	s_or_b32 exec_lo, exec_lo, s3
	v_or_b32_e32 v6, 0x200, v0
	s_delay_alu instid0(VALU_DEP_1) | instskip(NEXT) | instid1(VALU_DEP_1)
	v_cmp_gt_u32_e64 s3, s10, v6
	s_and_saveexec_b32 s4, s3
	s_cbranch_execz .LBB27_6
; %bb.5:
	global_load_b32 v3, v5, s[8:9] offset:2048
.LBB27_6:
	;; [unrolled: 9-line block ×3, first 2 shown]
	s_or_b32 exec_lo, exec_lo, s5
	v_lshrrev_b32_e32 v10, 3, v0
	v_lshrrev_b32_e32 v1, 3, v1
	v_lshrrev_b32_e32 v6, 3, v6
	v_lshrrev_b32_e32 v7, 3, v7
	s_mov_b32 s6, exec_lo
	v_and_b32_e32 v8, 28, v10
	v_and_b32_e32 v1, 60, v1
	;; [unrolled: 1-line block ×4, first 2 shown]
	v_add_lshl_u32 v10, v10, v5, 2
	v_add_nc_u32_e32 v6, v8, v5
	v_add_nc_u32_e32 v7, v1, v5
	;; [unrolled: 1-line block ×4, first 2 shown]
	s_waitcnt vmcnt(0)
	ds_store_b32 v6, v11
	ds_store_b32 v7, v2 offset:1024
	ds_store_b32 v8, v3 offset:2048
	;; [unrolled: 1-line block ×3, first 2 shown]
	s_waitcnt lgkmcnt(0)
	s_barrier
	buffer_gl0_inv
	ds_load_2addr_b32 v[1:2], v10 offset1:1
	ds_load_2addr_b32 v[3:4], v10 offset0:2 offset1:3
	s_waitcnt lgkmcnt(0)
	s_barrier
	buffer_gl0_inv
	v_add_nc_u32_e32 v11, v2, v1
	s_delay_alu instid0(VALU_DEP_1) | instskip(NEXT) | instid1(VALU_DEP_1)
	v_add_nc_u32_e32 v12, v11, v3
	v_add_nc_u32_e32 v13, v12, v4
	ds_store_b32 v6, v13
	s_waitcnt lgkmcnt(0)
	s_barrier
	buffer_gl0_inv
	v_cmpx_gt_u32_e32 32, v0
	s_cbranch_execz .LBB27_10
; %bb.9:
	v_and_b32_e32 v14, 0xfc, v0
	s_delay_alu instid0(VALU_DEP_1)
	v_lshl_or_b32 v22, v0, 5, v14
	ds_load_2addr_b32 v[14:15], v22 offset1:1
	ds_load_2addr_b32 v[16:17], v22 offset0:2 offset1:3
	ds_load_2addr_b32 v[18:19], v22 offset0:4 offset1:5
	;; [unrolled: 1-line block ×3, first 2 shown]
	; wave barrier
	s_waitcnt lgkmcnt(3)
	v_add_nc_u32_e32 v15, v15, v14
	s_waitcnt lgkmcnt(2)
	s_delay_alu instid0(VALU_DEP_1) | instskip(SKIP_2) | instid1(VALU_DEP_2)
	v_add3_u32 v15, v15, v16, v17
	v_mbcnt_lo_u32_b32 v16, -1, 0
	s_waitcnt lgkmcnt(1)
	v_add3_u32 v15, v15, v18, v19
	s_delay_alu instid0(VALU_DEP_2) | instskip(SKIP_2) | instid1(VALU_DEP_3)
	v_and_b32_e32 v17, 15, v16
	v_bfe_i32 v19, v16, 4, 1
	s_waitcnt lgkmcnt(0)
	v_add3_u32 v15, v15, v20, v21
	s_delay_alu instid0(VALU_DEP_3) | instskip(NEXT) | instid1(VALU_DEP_2)
	v_cmp_ne_u32_e64 s5, 0, v17
	v_mov_b32_dpp v18, v15 row_shr:1 row_mask:0xf bank_mask:0xf
	s_delay_alu instid0(VALU_DEP_1) | instskip(SKIP_1) | instid1(VALU_DEP_2)
	v_cndmask_b32_e64 v18, 0, v18, s5
	v_cmp_lt_u32_e64 s5, 1, v17
	v_add_nc_u32_e32 v15, v18, v15
	s_delay_alu instid0(VALU_DEP_1) | instskip(NEXT) | instid1(VALU_DEP_1)
	v_mov_b32_dpp v18, v15 row_shr:2 row_mask:0xf bank_mask:0xf
	v_cndmask_b32_e64 v18, 0, v18, s5
	v_cmp_lt_u32_e64 s5, 3, v17
	s_delay_alu instid0(VALU_DEP_2) | instskip(NEXT) | instid1(VALU_DEP_1)
	v_add_nc_u32_e32 v15, v15, v18
	v_mov_b32_dpp v18, v15 row_shr:4 row_mask:0xf bank_mask:0xf
	s_delay_alu instid0(VALU_DEP_1) | instskip(SKIP_1) | instid1(VALU_DEP_2)
	v_cndmask_b32_e64 v18, 0, v18, s5
	v_cmp_lt_u32_e64 s5, 7, v17
	v_add_nc_u32_e32 v15, v15, v18
	s_delay_alu instid0(VALU_DEP_1) | instskip(NEXT) | instid1(VALU_DEP_1)
	v_mov_b32_dpp v18, v15 row_shr:8 row_mask:0xf bank_mask:0xf
	v_cndmask_b32_e64 v17, 0, v18, s5
	v_add_nc_u32_e32 v18, -1, v16
	s_delay_alu instid0(VALU_DEP_2) | instskip(NEXT) | instid1(VALU_DEP_2)
	v_add_nc_u32_e32 v15, v15, v17
	v_cmp_gt_i32_e64 s5, 0, v18
	ds_swizzle_b32 v17, v15 offset:swizzle(BROADCAST,32,15)
	v_cndmask_b32_e64 v16, v18, v16, s5
	v_cmp_eq_u32_e64 s5, 0, v0
	s_delay_alu instid0(VALU_DEP_2) | instskip(SKIP_2) | instid1(VALU_DEP_1)
	v_lshlrev_b32_e32 v16, 2, v16
	s_waitcnt lgkmcnt(0)
	v_and_b32_e32 v17, v19, v17
	v_add_nc_u32_e32 v15, v15, v17
	ds_bpermute_b32 v15, v16, v15
	s_waitcnt lgkmcnt(0)
	v_add_nc_u32_e32 v14, v15, v14
	s_delay_alu instid0(VALU_DEP_1)
	v_cndmask_b32_e64 v20, v14, v13, s5
	ds_store_b32 v22, v20
	; wave barrier
	ds_load_2addr_b32 v[14:15], v22 offset0:1 offset1:2
	ds_load_2addr_b32 v[16:17], v22 offset0:3 offset1:4
	;; [unrolled: 1-line block ×3, first 2 shown]
	ds_load_b32 v21, v22 offset:28
	s_waitcnt lgkmcnt(3)
	v_add_nc_u32_e32 v14, v14, v20
	s_delay_alu instid0(VALU_DEP_1) | instskip(SKIP_1) | instid1(VALU_DEP_1)
	v_add_nc_u32_e32 v15, v15, v14
	s_waitcnt lgkmcnt(2)
	v_add_nc_u32_e32 v16, v16, v15
	s_delay_alu instid0(VALU_DEP_1) | instskip(SKIP_1) | instid1(VALU_DEP_1)
	v_add_nc_u32_e32 v17, v17, v16
	;; [unrolled: 4-line block ×3, first 2 shown]
	s_waitcnt lgkmcnt(0)
	v_add_nc_u32_e32 v20, v21, v19
	ds_store_2addr_b32 v22, v14, v15 offset0:1 offset1:2
	ds_store_2addr_b32 v22, v16, v17 offset0:3 offset1:4
	ds_store_2addr_b32 v22, v18, v19 offset0:5 offset1:6
	ds_store_b32 v22, v20 offset:28
.LBB27_10:
	s_or_b32 exec_lo, exec_lo, s6
	s_load_b64 s[6:7], s[0:1], 0x18
	v_cmp_ne_u32_e64 s0, 0, v0
	v_mov_b32_e32 v14, v13
	s_waitcnt lgkmcnt(0)
	s_barrier
	buffer_gl0_inv
	s_and_saveexec_b32 s1, s0
	s_cbranch_execz .LBB27_12
; %bb.11:
	v_add_nc_u32_e32 v0, -1, v0
	s_delay_alu instid0(VALU_DEP_1) | instskip(NEXT) | instid1(VALU_DEP_1)
	v_lshrrev_b32_e32 v14, 5, v0
	v_add_lshl_u32 v0, v14, v0, 2
	ds_load_b32 v14, v0
.LBB27_12:
	s_or_b32 exec_lo, exec_lo, s1
	s_and_saveexec_b32 s1, s0
	s_cbranch_execz .LBB27_14
; %bb.13:
	s_waitcnt lgkmcnt(0)
	v_add_nc_u32_e32 v1, v14, v1
	;;#ASMSTART
	;;#ASMEND
	s_delay_alu instid0(VALU_DEP_1) | instskip(NEXT) | instid1(VALU_DEP_1)
	v_add_nc_u32_e32 v11, v1, v2
	v_add_nc_u32_e32 v12, v11, v3
	s_delay_alu instid0(VALU_DEP_1)
	v_add_nc_u32_e32 v13, v12, v4
.LBB27_14:
	s_or_b32 exec_lo, exec_lo, s1
	s_waitcnt lgkmcnt(0)
	s_barrier
	buffer_gl0_inv
	ds_store_2addr_b32 v10, v1, v11 offset1:1
	ds_store_2addr_b32 v10, v12, v13 offset0:2 offset1:3
	s_waitcnt lgkmcnt(0)
	s_barrier
	buffer_gl0_inv
	ds_load_b32 v4, v7 offset:1024
	ds_load_b32 v3, v8 offset:2048
	;; [unrolled: 1-line block ×3, first 2 shown]
	v_add_co_u32 v0, s0, s6, v5
	s_delay_alu instid0(VALU_DEP_1)
	v_add_co_ci_u32_e64 v1, null, s7, 0, s0
	s_and_saveexec_b32 s0, vcc_lo
	s_cbranch_execnz .LBB27_19
; %bb.15:
	s_or_b32 exec_lo, exec_lo, s0
	s_and_saveexec_b32 s0, s2
	s_cbranch_execnz .LBB27_20
.LBB27_16:
	s_or_b32 exec_lo, exec_lo, s0
	s_and_saveexec_b32 s0, s3
	s_cbranch_execnz .LBB27_21
.LBB27_17:
	s_or_b32 exec_lo, exec_lo, s0
	s_and_saveexec_b32 s0, s4
	s_cbranch_execnz .LBB27_22
.LBB27_18:
	s_nop 0
	s_sendmsg sendmsg(MSG_DEALLOC_VGPRS)
	s_endpgm
.LBB27_19:
	ds_load_b32 v5, v6
	s_waitcnt lgkmcnt(0)
	global_store_b32 v[0:1], v5, off
	s_or_b32 exec_lo, exec_lo, s0
	s_and_saveexec_b32 s0, s2
	s_cbranch_execz .LBB27_16
.LBB27_20:
	s_waitcnt lgkmcnt(2)
	global_store_b32 v[0:1], v4, off offset:1024
	s_or_b32 exec_lo, exec_lo, s0
	s_and_saveexec_b32 s0, s3
	s_cbranch_execz .LBB27_17
.LBB27_21:
	s_waitcnt lgkmcnt(1)
	global_store_b32 v[0:1], v3, off offset:2048
	s_or_b32 exec_lo, exec_lo, s0
	s_and_saveexec_b32 s0, s4
	s_cbranch_execz .LBB27_18
.LBB27_22:
	s_waitcnt lgkmcnt(0)
	global_store_b32 v[0:1], v2, off offset:3072
	s_nop 0
	s_sendmsg sendmsg(MSG_DEALLOC_VGPRS)
	s_endpgm
	.section	.rodata,"a",@progbits
	.p2align	6, 0x0
	.amdhsa_kernel _ZN7rocprim17ROCPRIM_400000_NS6detail17trampoline_kernelINS0_14default_configENS1_20scan_config_selectorIiEEZZNS1_9scan_implILNS1_25lookback_scan_determinismE0ELb0ELb0ES3_N6thrust23THRUST_200600_302600_NS6detail15normal_iteratorINS9_10device_ptrIiEEEESE_iNS9_4plusIvEEiEEDaPvRmT3_T4_T5_mT6_P12ihipStream_tbENKUlT_T0_E_clISt17integral_constantIbLb0EESU_EEDaSP_SQ_EUlSP_E0_NS1_11comp_targetILNS1_3genE9ELNS1_11target_archE1100ELNS1_3gpuE3ELNS1_3repE0EEENS1_30default_config_static_selectorELNS0_4arch9wavefront6targetE0EEEvT1_
		.amdhsa_group_segment_fixed_size 4224
		.amdhsa_private_segment_fixed_size 0
		.amdhsa_kernarg_size 32
		.amdhsa_user_sgpr_count 15
		.amdhsa_user_sgpr_dispatch_ptr 0
		.amdhsa_user_sgpr_queue_ptr 0
		.amdhsa_user_sgpr_kernarg_segment_ptr 1
		.amdhsa_user_sgpr_dispatch_id 0
		.amdhsa_user_sgpr_private_segment_size 0
		.amdhsa_wavefront_size32 1
		.amdhsa_uses_dynamic_stack 0
		.amdhsa_enable_private_segment 0
		.amdhsa_system_sgpr_workgroup_id_x 1
		.amdhsa_system_sgpr_workgroup_id_y 0
		.amdhsa_system_sgpr_workgroup_id_z 0
		.amdhsa_system_sgpr_workgroup_info 0
		.amdhsa_system_vgpr_workitem_id 0
		.amdhsa_next_free_vgpr 23
		.amdhsa_next_free_sgpr 12
		.amdhsa_reserve_vcc 1
		.amdhsa_float_round_mode_32 0
		.amdhsa_float_round_mode_16_64 0
		.amdhsa_float_denorm_mode_32 3
		.amdhsa_float_denorm_mode_16_64 3
		.amdhsa_dx10_clamp 1
		.amdhsa_ieee_mode 1
		.amdhsa_fp16_overflow 0
		.amdhsa_workgroup_processor_mode 1
		.amdhsa_memory_ordered 1
		.amdhsa_forward_progress 0
		.amdhsa_shared_vgpr_count 0
		.amdhsa_exception_fp_ieee_invalid_op 0
		.amdhsa_exception_fp_denorm_src 0
		.amdhsa_exception_fp_ieee_div_zero 0
		.amdhsa_exception_fp_ieee_overflow 0
		.amdhsa_exception_fp_ieee_underflow 0
		.amdhsa_exception_fp_ieee_inexact 0
		.amdhsa_exception_int_div_zero 0
	.end_amdhsa_kernel
	.section	.text._ZN7rocprim17ROCPRIM_400000_NS6detail17trampoline_kernelINS0_14default_configENS1_20scan_config_selectorIiEEZZNS1_9scan_implILNS1_25lookback_scan_determinismE0ELb0ELb0ES3_N6thrust23THRUST_200600_302600_NS6detail15normal_iteratorINS9_10device_ptrIiEEEESE_iNS9_4plusIvEEiEEDaPvRmT3_T4_T5_mT6_P12ihipStream_tbENKUlT_T0_E_clISt17integral_constantIbLb0EESU_EEDaSP_SQ_EUlSP_E0_NS1_11comp_targetILNS1_3genE9ELNS1_11target_archE1100ELNS1_3gpuE3ELNS1_3repE0EEENS1_30default_config_static_selectorELNS0_4arch9wavefront6targetE0EEEvT1_,"axG",@progbits,_ZN7rocprim17ROCPRIM_400000_NS6detail17trampoline_kernelINS0_14default_configENS1_20scan_config_selectorIiEEZZNS1_9scan_implILNS1_25lookback_scan_determinismE0ELb0ELb0ES3_N6thrust23THRUST_200600_302600_NS6detail15normal_iteratorINS9_10device_ptrIiEEEESE_iNS9_4plusIvEEiEEDaPvRmT3_T4_T5_mT6_P12ihipStream_tbENKUlT_T0_E_clISt17integral_constantIbLb0EESU_EEDaSP_SQ_EUlSP_E0_NS1_11comp_targetILNS1_3genE9ELNS1_11target_archE1100ELNS1_3gpuE3ELNS1_3repE0EEENS1_30default_config_static_selectorELNS0_4arch9wavefront6targetE0EEEvT1_,comdat
.Lfunc_end27:
	.size	_ZN7rocprim17ROCPRIM_400000_NS6detail17trampoline_kernelINS0_14default_configENS1_20scan_config_selectorIiEEZZNS1_9scan_implILNS1_25lookback_scan_determinismE0ELb0ELb0ES3_N6thrust23THRUST_200600_302600_NS6detail15normal_iteratorINS9_10device_ptrIiEEEESE_iNS9_4plusIvEEiEEDaPvRmT3_T4_T5_mT6_P12ihipStream_tbENKUlT_T0_E_clISt17integral_constantIbLb0EESU_EEDaSP_SQ_EUlSP_E0_NS1_11comp_targetILNS1_3genE9ELNS1_11target_archE1100ELNS1_3gpuE3ELNS1_3repE0EEENS1_30default_config_static_selectorELNS0_4arch9wavefront6targetE0EEEvT1_, .Lfunc_end27-_ZN7rocprim17ROCPRIM_400000_NS6detail17trampoline_kernelINS0_14default_configENS1_20scan_config_selectorIiEEZZNS1_9scan_implILNS1_25lookback_scan_determinismE0ELb0ELb0ES3_N6thrust23THRUST_200600_302600_NS6detail15normal_iteratorINS9_10device_ptrIiEEEESE_iNS9_4plusIvEEiEEDaPvRmT3_T4_T5_mT6_P12ihipStream_tbENKUlT_T0_E_clISt17integral_constantIbLb0EESU_EEDaSP_SQ_EUlSP_E0_NS1_11comp_targetILNS1_3genE9ELNS1_11target_archE1100ELNS1_3gpuE3ELNS1_3repE0EEENS1_30default_config_static_selectorELNS0_4arch9wavefront6targetE0EEEvT1_
                                        ; -- End function
	.section	.AMDGPU.csdata,"",@progbits
; Kernel info:
; codeLenInByte = 1272
; NumSgprs: 14
; NumVgprs: 23
; ScratchSize: 0
; MemoryBound: 0
; FloatMode: 240
; IeeeMode: 1
; LDSByteSize: 4224 bytes/workgroup (compile time only)
; SGPRBlocks: 1
; VGPRBlocks: 2
; NumSGPRsForWavesPerEU: 14
; NumVGPRsForWavesPerEU: 23
; Occupancy: 16
; WaveLimiterHint : 0
; COMPUTE_PGM_RSRC2:SCRATCH_EN: 0
; COMPUTE_PGM_RSRC2:USER_SGPR: 15
; COMPUTE_PGM_RSRC2:TRAP_HANDLER: 0
; COMPUTE_PGM_RSRC2:TGID_X_EN: 1
; COMPUTE_PGM_RSRC2:TGID_Y_EN: 0
; COMPUTE_PGM_RSRC2:TGID_Z_EN: 0
; COMPUTE_PGM_RSRC2:TIDIG_COMP_CNT: 0
	.section	.text._ZN7rocprim17ROCPRIM_400000_NS6detail17trampoline_kernelINS0_14default_configENS1_20scan_config_selectorIiEEZZNS1_9scan_implILNS1_25lookback_scan_determinismE0ELb0ELb0ES3_N6thrust23THRUST_200600_302600_NS6detail15normal_iteratorINS9_10device_ptrIiEEEESE_iNS9_4plusIvEEiEEDaPvRmT3_T4_T5_mT6_P12ihipStream_tbENKUlT_T0_E_clISt17integral_constantIbLb0EESU_EEDaSP_SQ_EUlSP_E0_NS1_11comp_targetILNS1_3genE8ELNS1_11target_archE1030ELNS1_3gpuE2ELNS1_3repE0EEENS1_30default_config_static_selectorELNS0_4arch9wavefront6targetE0EEEvT1_,"axG",@progbits,_ZN7rocprim17ROCPRIM_400000_NS6detail17trampoline_kernelINS0_14default_configENS1_20scan_config_selectorIiEEZZNS1_9scan_implILNS1_25lookback_scan_determinismE0ELb0ELb0ES3_N6thrust23THRUST_200600_302600_NS6detail15normal_iteratorINS9_10device_ptrIiEEEESE_iNS9_4plusIvEEiEEDaPvRmT3_T4_T5_mT6_P12ihipStream_tbENKUlT_T0_E_clISt17integral_constantIbLb0EESU_EEDaSP_SQ_EUlSP_E0_NS1_11comp_targetILNS1_3genE8ELNS1_11target_archE1030ELNS1_3gpuE2ELNS1_3repE0EEENS1_30default_config_static_selectorELNS0_4arch9wavefront6targetE0EEEvT1_,comdat
	.protected	_ZN7rocprim17ROCPRIM_400000_NS6detail17trampoline_kernelINS0_14default_configENS1_20scan_config_selectorIiEEZZNS1_9scan_implILNS1_25lookback_scan_determinismE0ELb0ELb0ES3_N6thrust23THRUST_200600_302600_NS6detail15normal_iteratorINS9_10device_ptrIiEEEESE_iNS9_4plusIvEEiEEDaPvRmT3_T4_T5_mT6_P12ihipStream_tbENKUlT_T0_E_clISt17integral_constantIbLb0EESU_EEDaSP_SQ_EUlSP_E0_NS1_11comp_targetILNS1_3genE8ELNS1_11target_archE1030ELNS1_3gpuE2ELNS1_3repE0EEENS1_30default_config_static_selectorELNS0_4arch9wavefront6targetE0EEEvT1_ ; -- Begin function _ZN7rocprim17ROCPRIM_400000_NS6detail17trampoline_kernelINS0_14default_configENS1_20scan_config_selectorIiEEZZNS1_9scan_implILNS1_25lookback_scan_determinismE0ELb0ELb0ES3_N6thrust23THRUST_200600_302600_NS6detail15normal_iteratorINS9_10device_ptrIiEEEESE_iNS9_4plusIvEEiEEDaPvRmT3_T4_T5_mT6_P12ihipStream_tbENKUlT_T0_E_clISt17integral_constantIbLb0EESU_EEDaSP_SQ_EUlSP_E0_NS1_11comp_targetILNS1_3genE8ELNS1_11target_archE1030ELNS1_3gpuE2ELNS1_3repE0EEENS1_30default_config_static_selectorELNS0_4arch9wavefront6targetE0EEEvT1_
	.globl	_ZN7rocprim17ROCPRIM_400000_NS6detail17trampoline_kernelINS0_14default_configENS1_20scan_config_selectorIiEEZZNS1_9scan_implILNS1_25lookback_scan_determinismE0ELb0ELb0ES3_N6thrust23THRUST_200600_302600_NS6detail15normal_iteratorINS9_10device_ptrIiEEEESE_iNS9_4plusIvEEiEEDaPvRmT3_T4_T5_mT6_P12ihipStream_tbENKUlT_T0_E_clISt17integral_constantIbLb0EESU_EEDaSP_SQ_EUlSP_E0_NS1_11comp_targetILNS1_3genE8ELNS1_11target_archE1030ELNS1_3gpuE2ELNS1_3repE0EEENS1_30default_config_static_selectorELNS0_4arch9wavefront6targetE0EEEvT1_
	.p2align	8
	.type	_ZN7rocprim17ROCPRIM_400000_NS6detail17trampoline_kernelINS0_14default_configENS1_20scan_config_selectorIiEEZZNS1_9scan_implILNS1_25lookback_scan_determinismE0ELb0ELb0ES3_N6thrust23THRUST_200600_302600_NS6detail15normal_iteratorINS9_10device_ptrIiEEEESE_iNS9_4plusIvEEiEEDaPvRmT3_T4_T5_mT6_P12ihipStream_tbENKUlT_T0_E_clISt17integral_constantIbLb0EESU_EEDaSP_SQ_EUlSP_E0_NS1_11comp_targetILNS1_3genE8ELNS1_11target_archE1030ELNS1_3gpuE2ELNS1_3repE0EEENS1_30default_config_static_selectorELNS0_4arch9wavefront6targetE0EEEvT1_,@function
_ZN7rocprim17ROCPRIM_400000_NS6detail17trampoline_kernelINS0_14default_configENS1_20scan_config_selectorIiEEZZNS1_9scan_implILNS1_25lookback_scan_determinismE0ELb0ELb0ES3_N6thrust23THRUST_200600_302600_NS6detail15normal_iteratorINS9_10device_ptrIiEEEESE_iNS9_4plusIvEEiEEDaPvRmT3_T4_T5_mT6_P12ihipStream_tbENKUlT_T0_E_clISt17integral_constantIbLb0EESU_EEDaSP_SQ_EUlSP_E0_NS1_11comp_targetILNS1_3genE8ELNS1_11target_archE1030ELNS1_3gpuE2ELNS1_3repE0EEENS1_30default_config_static_selectorELNS0_4arch9wavefront6targetE0EEEvT1_: ; @_ZN7rocprim17ROCPRIM_400000_NS6detail17trampoline_kernelINS0_14default_configENS1_20scan_config_selectorIiEEZZNS1_9scan_implILNS1_25lookback_scan_determinismE0ELb0ELb0ES3_N6thrust23THRUST_200600_302600_NS6detail15normal_iteratorINS9_10device_ptrIiEEEESE_iNS9_4plusIvEEiEEDaPvRmT3_T4_T5_mT6_P12ihipStream_tbENKUlT_T0_E_clISt17integral_constantIbLb0EESU_EEDaSP_SQ_EUlSP_E0_NS1_11comp_targetILNS1_3genE8ELNS1_11target_archE1030ELNS1_3gpuE2ELNS1_3repE0EEENS1_30default_config_static_selectorELNS0_4arch9wavefront6targetE0EEEvT1_
; %bb.0:
	.section	.rodata,"a",@progbits
	.p2align	6, 0x0
	.amdhsa_kernel _ZN7rocprim17ROCPRIM_400000_NS6detail17trampoline_kernelINS0_14default_configENS1_20scan_config_selectorIiEEZZNS1_9scan_implILNS1_25lookback_scan_determinismE0ELb0ELb0ES3_N6thrust23THRUST_200600_302600_NS6detail15normal_iteratorINS9_10device_ptrIiEEEESE_iNS9_4plusIvEEiEEDaPvRmT3_T4_T5_mT6_P12ihipStream_tbENKUlT_T0_E_clISt17integral_constantIbLb0EESU_EEDaSP_SQ_EUlSP_E0_NS1_11comp_targetILNS1_3genE8ELNS1_11target_archE1030ELNS1_3gpuE2ELNS1_3repE0EEENS1_30default_config_static_selectorELNS0_4arch9wavefront6targetE0EEEvT1_
		.amdhsa_group_segment_fixed_size 0
		.amdhsa_private_segment_fixed_size 0
		.amdhsa_kernarg_size 32
		.amdhsa_user_sgpr_count 15
		.amdhsa_user_sgpr_dispatch_ptr 0
		.amdhsa_user_sgpr_queue_ptr 0
		.amdhsa_user_sgpr_kernarg_segment_ptr 1
		.amdhsa_user_sgpr_dispatch_id 0
		.amdhsa_user_sgpr_private_segment_size 0
		.amdhsa_wavefront_size32 1
		.amdhsa_uses_dynamic_stack 0
		.amdhsa_enable_private_segment 0
		.amdhsa_system_sgpr_workgroup_id_x 1
		.amdhsa_system_sgpr_workgroup_id_y 0
		.amdhsa_system_sgpr_workgroup_id_z 0
		.amdhsa_system_sgpr_workgroup_info 0
		.amdhsa_system_vgpr_workitem_id 0
		.amdhsa_next_free_vgpr 1
		.amdhsa_next_free_sgpr 1
		.amdhsa_reserve_vcc 0
		.amdhsa_float_round_mode_32 0
		.amdhsa_float_round_mode_16_64 0
		.amdhsa_float_denorm_mode_32 3
		.amdhsa_float_denorm_mode_16_64 3
		.amdhsa_dx10_clamp 1
		.amdhsa_ieee_mode 1
		.amdhsa_fp16_overflow 0
		.amdhsa_workgroup_processor_mode 1
		.amdhsa_memory_ordered 1
		.amdhsa_forward_progress 0
		.amdhsa_shared_vgpr_count 0
		.amdhsa_exception_fp_ieee_invalid_op 0
		.amdhsa_exception_fp_denorm_src 0
		.amdhsa_exception_fp_ieee_div_zero 0
		.amdhsa_exception_fp_ieee_overflow 0
		.amdhsa_exception_fp_ieee_underflow 0
		.amdhsa_exception_fp_ieee_inexact 0
		.amdhsa_exception_int_div_zero 0
	.end_amdhsa_kernel
	.section	.text._ZN7rocprim17ROCPRIM_400000_NS6detail17trampoline_kernelINS0_14default_configENS1_20scan_config_selectorIiEEZZNS1_9scan_implILNS1_25lookback_scan_determinismE0ELb0ELb0ES3_N6thrust23THRUST_200600_302600_NS6detail15normal_iteratorINS9_10device_ptrIiEEEESE_iNS9_4plusIvEEiEEDaPvRmT3_T4_T5_mT6_P12ihipStream_tbENKUlT_T0_E_clISt17integral_constantIbLb0EESU_EEDaSP_SQ_EUlSP_E0_NS1_11comp_targetILNS1_3genE8ELNS1_11target_archE1030ELNS1_3gpuE2ELNS1_3repE0EEENS1_30default_config_static_selectorELNS0_4arch9wavefront6targetE0EEEvT1_,"axG",@progbits,_ZN7rocprim17ROCPRIM_400000_NS6detail17trampoline_kernelINS0_14default_configENS1_20scan_config_selectorIiEEZZNS1_9scan_implILNS1_25lookback_scan_determinismE0ELb0ELb0ES3_N6thrust23THRUST_200600_302600_NS6detail15normal_iteratorINS9_10device_ptrIiEEEESE_iNS9_4plusIvEEiEEDaPvRmT3_T4_T5_mT6_P12ihipStream_tbENKUlT_T0_E_clISt17integral_constantIbLb0EESU_EEDaSP_SQ_EUlSP_E0_NS1_11comp_targetILNS1_3genE8ELNS1_11target_archE1030ELNS1_3gpuE2ELNS1_3repE0EEENS1_30default_config_static_selectorELNS0_4arch9wavefront6targetE0EEEvT1_,comdat
.Lfunc_end28:
	.size	_ZN7rocprim17ROCPRIM_400000_NS6detail17trampoline_kernelINS0_14default_configENS1_20scan_config_selectorIiEEZZNS1_9scan_implILNS1_25lookback_scan_determinismE0ELb0ELb0ES3_N6thrust23THRUST_200600_302600_NS6detail15normal_iteratorINS9_10device_ptrIiEEEESE_iNS9_4plusIvEEiEEDaPvRmT3_T4_T5_mT6_P12ihipStream_tbENKUlT_T0_E_clISt17integral_constantIbLb0EESU_EEDaSP_SQ_EUlSP_E0_NS1_11comp_targetILNS1_3genE8ELNS1_11target_archE1030ELNS1_3gpuE2ELNS1_3repE0EEENS1_30default_config_static_selectorELNS0_4arch9wavefront6targetE0EEEvT1_, .Lfunc_end28-_ZN7rocprim17ROCPRIM_400000_NS6detail17trampoline_kernelINS0_14default_configENS1_20scan_config_selectorIiEEZZNS1_9scan_implILNS1_25lookback_scan_determinismE0ELb0ELb0ES3_N6thrust23THRUST_200600_302600_NS6detail15normal_iteratorINS9_10device_ptrIiEEEESE_iNS9_4plusIvEEiEEDaPvRmT3_T4_T5_mT6_P12ihipStream_tbENKUlT_T0_E_clISt17integral_constantIbLb0EESU_EEDaSP_SQ_EUlSP_E0_NS1_11comp_targetILNS1_3genE8ELNS1_11target_archE1030ELNS1_3gpuE2ELNS1_3repE0EEENS1_30default_config_static_selectorELNS0_4arch9wavefront6targetE0EEEvT1_
                                        ; -- End function
	.section	.AMDGPU.csdata,"",@progbits
; Kernel info:
; codeLenInByte = 0
; NumSgprs: 0
; NumVgprs: 0
; ScratchSize: 0
; MemoryBound: 0
; FloatMode: 240
; IeeeMode: 1
; LDSByteSize: 0 bytes/workgroup (compile time only)
; SGPRBlocks: 0
; VGPRBlocks: 0
; NumSGPRsForWavesPerEU: 1
; NumVGPRsForWavesPerEU: 1
; Occupancy: 16
; WaveLimiterHint : 0
; COMPUTE_PGM_RSRC2:SCRATCH_EN: 0
; COMPUTE_PGM_RSRC2:USER_SGPR: 15
; COMPUTE_PGM_RSRC2:TRAP_HANDLER: 0
; COMPUTE_PGM_RSRC2:TGID_X_EN: 1
; COMPUTE_PGM_RSRC2:TGID_Y_EN: 0
; COMPUTE_PGM_RSRC2:TGID_Z_EN: 0
; COMPUTE_PGM_RSRC2:TIDIG_COMP_CNT: 0
	.section	.text._ZN7rocprim17ROCPRIM_400000_NS6detail31init_lookback_scan_state_kernelINS1_19lookback_scan_stateIiLb1ELb1EEENS1_16block_id_wrapperIjLb1EEEEEvT_jT0_jPNS7_10value_typeE,"axG",@progbits,_ZN7rocprim17ROCPRIM_400000_NS6detail31init_lookback_scan_state_kernelINS1_19lookback_scan_stateIiLb1ELb1EEENS1_16block_id_wrapperIjLb1EEEEEvT_jT0_jPNS7_10value_typeE,comdat
	.protected	_ZN7rocprim17ROCPRIM_400000_NS6detail31init_lookback_scan_state_kernelINS1_19lookback_scan_stateIiLb1ELb1EEENS1_16block_id_wrapperIjLb1EEEEEvT_jT0_jPNS7_10value_typeE ; -- Begin function _ZN7rocprim17ROCPRIM_400000_NS6detail31init_lookback_scan_state_kernelINS1_19lookback_scan_stateIiLb1ELb1EEENS1_16block_id_wrapperIjLb1EEEEEvT_jT0_jPNS7_10value_typeE
	.globl	_ZN7rocprim17ROCPRIM_400000_NS6detail31init_lookback_scan_state_kernelINS1_19lookback_scan_stateIiLb1ELb1EEENS1_16block_id_wrapperIjLb1EEEEEvT_jT0_jPNS7_10value_typeE
	.p2align	8
	.type	_ZN7rocprim17ROCPRIM_400000_NS6detail31init_lookback_scan_state_kernelINS1_19lookback_scan_stateIiLb1ELb1EEENS1_16block_id_wrapperIjLb1EEEEEvT_jT0_jPNS7_10value_typeE,@function
_ZN7rocprim17ROCPRIM_400000_NS6detail31init_lookback_scan_state_kernelINS1_19lookback_scan_stateIiLb1ELb1EEENS1_16block_id_wrapperIjLb1EEEEEvT_jT0_jPNS7_10value_typeE: ; @_ZN7rocprim17ROCPRIM_400000_NS6detail31init_lookback_scan_state_kernelINS1_19lookback_scan_stateIiLb1ELb1EEENS1_16block_id_wrapperIjLb1EEEEEvT_jT0_jPNS7_10value_typeE
; %bb.0:
	s_clause 0x3
	s_load_b32 s6, s[0:1], 0x34
	s_load_b64 s[4:5], s[0:1], 0x20
	s_load_b64 s[2:3], s[0:1], 0x0
	s_load_b32 s8, s[0:1], 0x8
	s_waitcnt lgkmcnt(0)
	s_and_b32 s6, s6, 0xffff
	s_cmp_eq_u64 s[4:5], 0
	v_mad_u64_u32 v[1:2], null, s15, s6, v[0:1]
	s_cbranch_scc1 .LBB29_9
; %bb.1:
	s_load_b32 s6, s[0:1], 0x18
	s_waitcnt lgkmcnt(0)
	s_cmp_lt_u32 s6, s8
	s_cselect_b32 s7, s6, 0
	s_delay_alu instid0(VALU_DEP_1) | instid1(SALU_CYCLE_1)
	v_cmp_eq_u32_e32 vcc_lo, s7, v1
	s_mov_b32 s7, 0
	s_and_saveexec_b32 s9, vcc_lo
	s_cbranch_execz .LBB29_8
; %bb.2:
	s_add_i32 s6, s6, 32
	v_mov_b32_e32 v2, 0
	s_lshl_b64 s[6:7], s[6:7], 3
	s_delay_alu instid0(SALU_CYCLE_1) | instskip(SKIP_4) | instid1(VALU_DEP_1)
	s_add_u32 s6, s2, s6
	s_addc_u32 s7, s3, s7
	global_load_b64 v[4:5], v2, s[6:7] glc
	s_waitcnt vmcnt(0)
	v_and_b32_e32 v3, 0xff, v5
	v_cmp_ne_u64_e32 vcc_lo, 0, v[2:3]
	s_cbranch_vccnz .LBB29_7
; %bb.3:
	s_mov_b32 s10, 1
.LBB29_4:                               ; =>This Loop Header: Depth=1
                                        ;     Child Loop BB29_5 Depth 2
	s_delay_alu instid0(SALU_CYCLE_1)
	s_max_u32 s11, s10, 1
.LBB29_5:                               ;   Parent Loop BB29_4 Depth=1
                                        ; =>  This Inner Loop Header: Depth=2
	s_delay_alu instid0(SALU_CYCLE_1)
	s_add_i32 s11, s11, -1
	s_sleep 1
	s_cmp_eq_u32 s11, 0
	s_cbranch_scc0 .LBB29_5
; %bb.6:                                ;   in Loop: Header=BB29_4 Depth=1
	global_load_b64 v[4:5], v2, s[6:7] glc
	s_cmp_lt_u32 s10, 32
	s_cselect_b32 s11, -1, 0
	s_delay_alu instid0(SALU_CYCLE_1) | instskip(SKIP_3) | instid1(VALU_DEP_1)
	s_cmp_lg_u32 s11, 0
	s_addc_u32 s10, s10, 0
	s_waitcnt vmcnt(0)
	v_and_b32_e32 v3, 0xff, v5
	v_cmp_ne_u64_e32 vcc_lo, 0, v[2:3]
	s_cbranch_vccz .LBB29_4
.LBB29_7:
	v_mov_b32_e32 v0, 0
	global_store_b32 v0, v4, s[4:5]
.LBB29_8:
	s_or_b32 exec_lo, exec_lo, s9
.LBB29_9:
	s_delay_alu instid0(SALU_CYCLE_1) | instskip(NEXT) | instid1(VALU_DEP_1)
	s_mov_b32 s4, exec_lo
	v_cmpx_eq_u32_e32 0, v1
	s_cbranch_execz .LBB29_11
; %bb.10:
	s_load_b64 s[0:1], s[0:1], 0x10
	v_mov_b32_e32 v0, 0
	s_waitcnt lgkmcnt(0)
	global_store_b32 v0, v0, s[0:1]
.LBB29_11:
	s_or_b32 exec_lo, exec_lo, s4
	s_delay_alu instid0(SALU_CYCLE_1)
	s_mov_b32 s0, exec_lo
	v_cmpx_gt_u32_e64 s8, v1
	s_cbranch_execz .LBB29_13
; %bb.12:
	v_dual_mov_b32 v3, 0 :: v_dual_add_nc_u32 v2, 32, v1
	s_delay_alu instid0(VALU_DEP_1) | instskip(SKIP_1) | instid1(VALU_DEP_2)
	v_lshlrev_b64 v[4:5], 3, v[2:3]
	v_mov_b32_e32 v2, v3
	v_add_co_u32 v4, vcc_lo, s2, v4
	s_delay_alu instid0(VALU_DEP_3)
	v_add_co_ci_u32_e32 v5, vcc_lo, s3, v5, vcc_lo
	global_store_b64 v[4:5], v[2:3], off
.LBB29_13:
	s_or_b32 exec_lo, exec_lo, s0
	s_delay_alu instid0(SALU_CYCLE_1)
	s_mov_b32 s0, exec_lo
	v_cmpx_gt_u32_e32 32, v1
	s_cbranch_execz .LBB29_15
; %bb.14:
	v_dual_mov_b32 v2, 0 :: v_dual_mov_b32 v3, 0xff
	s_delay_alu instid0(VALU_DEP_1) | instskip(NEXT) | instid1(VALU_DEP_1)
	v_lshlrev_b64 v[0:1], 3, v[1:2]
	v_add_co_u32 v0, vcc_lo, s2, v0
	s_delay_alu instid0(VALU_DEP_2)
	v_add_co_ci_u32_e32 v1, vcc_lo, s3, v1, vcc_lo
	global_store_b64 v[0:1], v[2:3], off
.LBB29_15:
	s_nop 0
	s_sendmsg sendmsg(MSG_DEALLOC_VGPRS)
	s_endpgm
	.section	.rodata,"a",@progbits
	.p2align	6, 0x0
	.amdhsa_kernel _ZN7rocprim17ROCPRIM_400000_NS6detail31init_lookback_scan_state_kernelINS1_19lookback_scan_stateIiLb1ELb1EEENS1_16block_id_wrapperIjLb1EEEEEvT_jT0_jPNS7_10value_typeE
		.amdhsa_group_segment_fixed_size 0
		.amdhsa_private_segment_fixed_size 0
		.amdhsa_kernarg_size 296
		.amdhsa_user_sgpr_count 15
		.amdhsa_user_sgpr_dispatch_ptr 0
		.amdhsa_user_sgpr_queue_ptr 0
		.amdhsa_user_sgpr_kernarg_segment_ptr 1
		.amdhsa_user_sgpr_dispatch_id 0
		.amdhsa_user_sgpr_private_segment_size 0
		.amdhsa_wavefront_size32 1
		.amdhsa_uses_dynamic_stack 0
		.amdhsa_enable_private_segment 0
		.amdhsa_system_sgpr_workgroup_id_x 1
		.amdhsa_system_sgpr_workgroup_id_y 0
		.amdhsa_system_sgpr_workgroup_id_z 0
		.amdhsa_system_sgpr_workgroup_info 0
		.amdhsa_system_vgpr_workitem_id 0
		.amdhsa_next_free_vgpr 6
		.amdhsa_next_free_sgpr 16
		.amdhsa_reserve_vcc 1
		.amdhsa_float_round_mode_32 0
		.amdhsa_float_round_mode_16_64 0
		.amdhsa_float_denorm_mode_32 3
		.amdhsa_float_denorm_mode_16_64 3
		.amdhsa_dx10_clamp 1
		.amdhsa_ieee_mode 1
		.amdhsa_fp16_overflow 0
		.amdhsa_workgroup_processor_mode 1
		.amdhsa_memory_ordered 1
		.amdhsa_forward_progress 0
		.amdhsa_shared_vgpr_count 0
		.amdhsa_exception_fp_ieee_invalid_op 0
		.amdhsa_exception_fp_denorm_src 0
		.amdhsa_exception_fp_ieee_div_zero 0
		.amdhsa_exception_fp_ieee_overflow 0
		.amdhsa_exception_fp_ieee_underflow 0
		.amdhsa_exception_fp_ieee_inexact 0
		.amdhsa_exception_int_div_zero 0
	.end_amdhsa_kernel
	.section	.text._ZN7rocprim17ROCPRIM_400000_NS6detail31init_lookback_scan_state_kernelINS1_19lookback_scan_stateIiLb1ELb1EEENS1_16block_id_wrapperIjLb1EEEEEvT_jT0_jPNS7_10value_typeE,"axG",@progbits,_ZN7rocprim17ROCPRIM_400000_NS6detail31init_lookback_scan_state_kernelINS1_19lookback_scan_stateIiLb1ELb1EEENS1_16block_id_wrapperIjLb1EEEEEvT_jT0_jPNS7_10value_typeE,comdat
.Lfunc_end29:
	.size	_ZN7rocprim17ROCPRIM_400000_NS6detail31init_lookback_scan_state_kernelINS1_19lookback_scan_stateIiLb1ELb1EEENS1_16block_id_wrapperIjLb1EEEEEvT_jT0_jPNS7_10value_typeE, .Lfunc_end29-_ZN7rocprim17ROCPRIM_400000_NS6detail31init_lookback_scan_state_kernelINS1_19lookback_scan_stateIiLb1ELb1EEENS1_16block_id_wrapperIjLb1EEEEEvT_jT0_jPNS7_10value_typeE
                                        ; -- End function
	.section	.AMDGPU.csdata,"",@progbits
; Kernel info:
; codeLenInByte = 444
; NumSgprs: 18
; NumVgprs: 6
; ScratchSize: 0
; MemoryBound: 0
; FloatMode: 240
; IeeeMode: 1
; LDSByteSize: 0 bytes/workgroup (compile time only)
; SGPRBlocks: 2
; VGPRBlocks: 0
; NumSGPRsForWavesPerEU: 18
; NumVGPRsForWavesPerEU: 6
; Occupancy: 16
; WaveLimiterHint : 0
; COMPUTE_PGM_RSRC2:SCRATCH_EN: 0
; COMPUTE_PGM_RSRC2:USER_SGPR: 15
; COMPUTE_PGM_RSRC2:TRAP_HANDLER: 0
; COMPUTE_PGM_RSRC2:TGID_X_EN: 1
; COMPUTE_PGM_RSRC2:TGID_Y_EN: 0
; COMPUTE_PGM_RSRC2:TGID_Z_EN: 0
; COMPUTE_PGM_RSRC2:TIDIG_COMP_CNT: 0
	.section	.text._ZN7rocprim17ROCPRIM_400000_NS6detail17trampoline_kernelINS0_14default_configENS1_20scan_config_selectorIiEEZZNS1_9scan_implILNS1_25lookback_scan_determinismE0ELb0ELb0ES3_N6thrust23THRUST_200600_302600_NS6detail15normal_iteratorINS9_10device_ptrIiEEEESE_iNS9_4plusIvEEiEEDaPvRmT3_T4_T5_mT6_P12ihipStream_tbENKUlT_T0_E_clISt17integral_constantIbLb1EESU_EEDaSP_SQ_EUlSP_E_NS1_11comp_targetILNS1_3genE0ELNS1_11target_archE4294967295ELNS1_3gpuE0ELNS1_3repE0EEENS1_30default_config_static_selectorELNS0_4arch9wavefront6targetE0EEEvT1_,"axG",@progbits,_ZN7rocprim17ROCPRIM_400000_NS6detail17trampoline_kernelINS0_14default_configENS1_20scan_config_selectorIiEEZZNS1_9scan_implILNS1_25lookback_scan_determinismE0ELb0ELb0ES3_N6thrust23THRUST_200600_302600_NS6detail15normal_iteratorINS9_10device_ptrIiEEEESE_iNS9_4plusIvEEiEEDaPvRmT3_T4_T5_mT6_P12ihipStream_tbENKUlT_T0_E_clISt17integral_constantIbLb1EESU_EEDaSP_SQ_EUlSP_E_NS1_11comp_targetILNS1_3genE0ELNS1_11target_archE4294967295ELNS1_3gpuE0ELNS1_3repE0EEENS1_30default_config_static_selectorELNS0_4arch9wavefront6targetE0EEEvT1_,comdat
	.protected	_ZN7rocprim17ROCPRIM_400000_NS6detail17trampoline_kernelINS0_14default_configENS1_20scan_config_selectorIiEEZZNS1_9scan_implILNS1_25lookback_scan_determinismE0ELb0ELb0ES3_N6thrust23THRUST_200600_302600_NS6detail15normal_iteratorINS9_10device_ptrIiEEEESE_iNS9_4plusIvEEiEEDaPvRmT3_T4_T5_mT6_P12ihipStream_tbENKUlT_T0_E_clISt17integral_constantIbLb1EESU_EEDaSP_SQ_EUlSP_E_NS1_11comp_targetILNS1_3genE0ELNS1_11target_archE4294967295ELNS1_3gpuE0ELNS1_3repE0EEENS1_30default_config_static_selectorELNS0_4arch9wavefront6targetE0EEEvT1_ ; -- Begin function _ZN7rocprim17ROCPRIM_400000_NS6detail17trampoline_kernelINS0_14default_configENS1_20scan_config_selectorIiEEZZNS1_9scan_implILNS1_25lookback_scan_determinismE0ELb0ELb0ES3_N6thrust23THRUST_200600_302600_NS6detail15normal_iteratorINS9_10device_ptrIiEEEESE_iNS9_4plusIvEEiEEDaPvRmT3_T4_T5_mT6_P12ihipStream_tbENKUlT_T0_E_clISt17integral_constantIbLb1EESU_EEDaSP_SQ_EUlSP_E_NS1_11comp_targetILNS1_3genE0ELNS1_11target_archE4294967295ELNS1_3gpuE0ELNS1_3repE0EEENS1_30default_config_static_selectorELNS0_4arch9wavefront6targetE0EEEvT1_
	.globl	_ZN7rocprim17ROCPRIM_400000_NS6detail17trampoline_kernelINS0_14default_configENS1_20scan_config_selectorIiEEZZNS1_9scan_implILNS1_25lookback_scan_determinismE0ELb0ELb0ES3_N6thrust23THRUST_200600_302600_NS6detail15normal_iteratorINS9_10device_ptrIiEEEESE_iNS9_4plusIvEEiEEDaPvRmT3_T4_T5_mT6_P12ihipStream_tbENKUlT_T0_E_clISt17integral_constantIbLb1EESU_EEDaSP_SQ_EUlSP_E_NS1_11comp_targetILNS1_3genE0ELNS1_11target_archE4294967295ELNS1_3gpuE0ELNS1_3repE0EEENS1_30default_config_static_selectorELNS0_4arch9wavefront6targetE0EEEvT1_
	.p2align	8
	.type	_ZN7rocprim17ROCPRIM_400000_NS6detail17trampoline_kernelINS0_14default_configENS1_20scan_config_selectorIiEEZZNS1_9scan_implILNS1_25lookback_scan_determinismE0ELb0ELb0ES3_N6thrust23THRUST_200600_302600_NS6detail15normal_iteratorINS9_10device_ptrIiEEEESE_iNS9_4plusIvEEiEEDaPvRmT3_T4_T5_mT6_P12ihipStream_tbENKUlT_T0_E_clISt17integral_constantIbLb1EESU_EEDaSP_SQ_EUlSP_E_NS1_11comp_targetILNS1_3genE0ELNS1_11target_archE4294967295ELNS1_3gpuE0ELNS1_3repE0EEENS1_30default_config_static_selectorELNS0_4arch9wavefront6targetE0EEEvT1_,@function
_ZN7rocprim17ROCPRIM_400000_NS6detail17trampoline_kernelINS0_14default_configENS1_20scan_config_selectorIiEEZZNS1_9scan_implILNS1_25lookback_scan_determinismE0ELb0ELb0ES3_N6thrust23THRUST_200600_302600_NS6detail15normal_iteratorINS9_10device_ptrIiEEEESE_iNS9_4plusIvEEiEEDaPvRmT3_T4_T5_mT6_P12ihipStream_tbENKUlT_T0_E_clISt17integral_constantIbLb1EESU_EEDaSP_SQ_EUlSP_E_NS1_11comp_targetILNS1_3genE0ELNS1_11target_archE4294967295ELNS1_3gpuE0ELNS1_3repE0EEENS1_30default_config_static_selectorELNS0_4arch9wavefront6targetE0EEEvT1_: ; @_ZN7rocprim17ROCPRIM_400000_NS6detail17trampoline_kernelINS0_14default_configENS1_20scan_config_selectorIiEEZZNS1_9scan_implILNS1_25lookback_scan_determinismE0ELb0ELb0ES3_N6thrust23THRUST_200600_302600_NS6detail15normal_iteratorINS9_10device_ptrIiEEEESE_iNS9_4plusIvEEiEEDaPvRmT3_T4_T5_mT6_P12ihipStream_tbENKUlT_T0_E_clISt17integral_constantIbLb1EESU_EEDaSP_SQ_EUlSP_E_NS1_11comp_targetILNS1_3genE0ELNS1_11target_archE4294967295ELNS1_3gpuE0ELNS1_3repE0EEENS1_30default_config_static_selectorELNS0_4arch9wavefront6targetE0EEEvT1_
; %bb.0:
	.section	.rodata,"a",@progbits
	.p2align	6, 0x0
	.amdhsa_kernel _ZN7rocprim17ROCPRIM_400000_NS6detail17trampoline_kernelINS0_14default_configENS1_20scan_config_selectorIiEEZZNS1_9scan_implILNS1_25lookback_scan_determinismE0ELb0ELb0ES3_N6thrust23THRUST_200600_302600_NS6detail15normal_iteratorINS9_10device_ptrIiEEEESE_iNS9_4plusIvEEiEEDaPvRmT3_T4_T5_mT6_P12ihipStream_tbENKUlT_T0_E_clISt17integral_constantIbLb1EESU_EEDaSP_SQ_EUlSP_E_NS1_11comp_targetILNS1_3genE0ELNS1_11target_archE4294967295ELNS1_3gpuE0ELNS1_3repE0EEENS1_30default_config_static_selectorELNS0_4arch9wavefront6targetE0EEEvT1_
		.amdhsa_group_segment_fixed_size 0
		.amdhsa_private_segment_fixed_size 0
		.amdhsa_kernarg_size 96
		.amdhsa_user_sgpr_count 15
		.amdhsa_user_sgpr_dispatch_ptr 0
		.amdhsa_user_sgpr_queue_ptr 0
		.amdhsa_user_sgpr_kernarg_segment_ptr 1
		.amdhsa_user_sgpr_dispatch_id 0
		.amdhsa_user_sgpr_private_segment_size 0
		.amdhsa_wavefront_size32 1
		.amdhsa_uses_dynamic_stack 0
		.amdhsa_enable_private_segment 0
		.amdhsa_system_sgpr_workgroup_id_x 1
		.amdhsa_system_sgpr_workgroup_id_y 0
		.amdhsa_system_sgpr_workgroup_id_z 0
		.amdhsa_system_sgpr_workgroup_info 0
		.amdhsa_system_vgpr_workitem_id 0
		.amdhsa_next_free_vgpr 1
		.amdhsa_next_free_sgpr 1
		.amdhsa_reserve_vcc 0
		.amdhsa_float_round_mode_32 0
		.amdhsa_float_round_mode_16_64 0
		.amdhsa_float_denorm_mode_32 3
		.amdhsa_float_denorm_mode_16_64 3
		.amdhsa_dx10_clamp 1
		.amdhsa_ieee_mode 1
		.amdhsa_fp16_overflow 0
		.amdhsa_workgroup_processor_mode 1
		.amdhsa_memory_ordered 1
		.amdhsa_forward_progress 0
		.amdhsa_shared_vgpr_count 0
		.amdhsa_exception_fp_ieee_invalid_op 0
		.amdhsa_exception_fp_denorm_src 0
		.amdhsa_exception_fp_ieee_div_zero 0
		.amdhsa_exception_fp_ieee_overflow 0
		.amdhsa_exception_fp_ieee_underflow 0
		.amdhsa_exception_fp_ieee_inexact 0
		.amdhsa_exception_int_div_zero 0
	.end_amdhsa_kernel
	.section	.text._ZN7rocprim17ROCPRIM_400000_NS6detail17trampoline_kernelINS0_14default_configENS1_20scan_config_selectorIiEEZZNS1_9scan_implILNS1_25lookback_scan_determinismE0ELb0ELb0ES3_N6thrust23THRUST_200600_302600_NS6detail15normal_iteratorINS9_10device_ptrIiEEEESE_iNS9_4plusIvEEiEEDaPvRmT3_T4_T5_mT6_P12ihipStream_tbENKUlT_T0_E_clISt17integral_constantIbLb1EESU_EEDaSP_SQ_EUlSP_E_NS1_11comp_targetILNS1_3genE0ELNS1_11target_archE4294967295ELNS1_3gpuE0ELNS1_3repE0EEENS1_30default_config_static_selectorELNS0_4arch9wavefront6targetE0EEEvT1_,"axG",@progbits,_ZN7rocprim17ROCPRIM_400000_NS6detail17trampoline_kernelINS0_14default_configENS1_20scan_config_selectorIiEEZZNS1_9scan_implILNS1_25lookback_scan_determinismE0ELb0ELb0ES3_N6thrust23THRUST_200600_302600_NS6detail15normal_iteratorINS9_10device_ptrIiEEEESE_iNS9_4plusIvEEiEEDaPvRmT3_T4_T5_mT6_P12ihipStream_tbENKUlT_T0_E_clISt17integral_constantIbLb1EESU_EEDaSP_SQ_EUlSP_E_NS1_11comp_targetILNS1_3genE0ELNS1_11target_archE4294967295ELNS1_3gpuE0ELNS1_3repE0EEENS1_30default_config_static_selectorELNS0_4arch9wavefront6targetE0EEEvT1_,comdat
.Lfunc_end30:
	.size	_ZN7rocprim17ROCPRIM_400000_NS6detail17trampoline_kernelINS0_14default_configENS1_20scan_config_selectorIiEEZZNS1_9scan_implILNS1_25lookback_scan_determinismE0ELb0ELb0ES3_N6thrust23THRUST_200600_302600_NS6detail15normal_iteratorINS9_10device_ptrIiEEEESE_iNS9_4plusIvEEiEEDaPvRmT3_T4_T5_mT6_P12ihipStream_tbENKUlT_T0_E_clISt17integral_constantIbLb1EESU_EEDaSP_SQ_EUlSP_E_NS1_11comp_targetILNS1_3genE0ELNS1_11target_archE4294967295ELNS1_3gpuE0ELNS1_3repE0EEENS1_30default_config_static_selectorELNS0_4arch9wavefront6targetE0EEEvT1_, .Lfunc_end30-_ZN7rocprim17ROCPRIM_400000_NS6detail17trampoline_kernelINS0_14default_configENS1_20scan_config_selectorIiEEZZNS1_9scan_implILNS1_25lookback_scan_determinismE0ELb0ELb0ES3_N6thrust23THRUST_200600_302600_NS6detail15normal_iteratorINS9_10device_ptrIiEEEESE_iNS9_4plusIvEEiEEDaPvRmT3_T4_T5_mT6_P12ihipStream_tbENKUlT_T0_E_clISt17integral_constantIbLb1EESU_EEDaSP_SQ_EUlSP_E_NS1_11comp_targetILNS1_3genE0ELNS1_11target_archE4294967295ELNS1_3gpuE0ELNS1_3repE0EEENS1_30default_config_static_selectorELNS0_4arch9wavefront6targetE0EEEvT1_
                                        ; -- End function
	.section	.AMDGPU.csdata,"",@progbits
; Kernel info:
; codeLenInByte = 0
; NumSgprs: 0
; NumVgprs: 0
; ScratchSize: 0
; MemoryBound: 0
; FloatMode: 240
; IeeeMode: 1
; LDSByteSize: 0 bytes/workgroup (compile time only)
; SGPRBlocks: 0
; VGPRBlocks: 0
; NumSGPRsForWavesPerEU: 1
; NumVGPRsForWavesPerEU: 1
; Occupancy: 16
; WaveLimiterHint : 0
; COMPUTE_PGM_RSRC2:SCRATCH_EN: 0
; COMPUTE_PGM_RSRC2:USER_SGPR: 15
; COMPUTE_PGM_RSRC2:TRAP_HANDLER: 0
; COMPUTE_PGM_RSRC2:TGID_X_EN: 1
; COMPUTE_PGM_RSRC2:TGID_Y_EN: 0
; COMPUTE_PGM_RSRC2:TGID_Z_EN: 0
; COMPUTE_PGM_RSRC2:TIDIG_COMP_CNT: 0
	.section	.text._ZN7rocprim17ROCPRIM_400000_NS6detail17trampoline_kernelINS0_14default_configENS1_20scan_config_selectorIiEEZZNS1_9scan_implILNS1_25lookback_scan_determinismE0ELb0ELb0ES3_N6thrust23THRUST_200600_302600_NS6detail15normal_iteratorINS9_10device_ptrIiEEEESE_iNS9_4plusIvEEiEEDaPvRmT3_T4_T5_mT6_P12ihipStream_tbENKUlT_T0_E_clISt17integral_constantIbLb1EESU_EEDaSP_SQ_EUlSP_E_NS1_11comp_targetILNS1_3genE5ELNS1_11target_archE942ELNS1_3gpuE9ELNS1_3repE0EEENS1_30default_config_static_selectorELNS0_4arch9wavefront6targetE0EEEvT1_,"axG",@progbits,_ZN7rocprim17ROCPRIM_400000_NS6detail17trampoline_kernelINS0_14default_configENS1_20scan_config_selectorIiEEZZNS1_9scan_implILNS1_25lookback_scan_determinismE0ELb0ELb0ES3_N6thrust23THRUST_200600_302600_NS6detail15normal_iteratorINS9_10device_ptrIiEEEESE_iNS9_4plusIvEEiEEDaPvRmT3_T4_T5_mT6_P12ihipStream_tbENKUlT_T0_E_clISt17integral_constantIbLb1EESU_EEDaSP_SQ_EUlSP_E_NS1_11comp_targetILNS1_3genE5ELNS1_11target_archE942ELNS1_3gpuE9ELNS1_3repE0EEENS1_30default_config_static_selectorELNS0_4arch9wavefront6targetE0EEEvT1_,comdat
	.protected	_ZN7rocprim17ROCPRIM_400000_NS6detail17trampoline_kernelINS0_14default_configENS1_20scan_config_selectorIiEEZZNS1_9scan_implILNS1_25lookback_scan_determinismE0ELb0ELb0ES3_N6thrust23THRUST_200600_302600_NS6detail15normal_iteratorINS9_10device_ptrIiEEEESE_iNS9_4plusIvEEiEEDaPvRmT3_T4_T5_mT6_P12ihipStream_tbENKUlT_T0_E_clISt17integral_constantIbLb1EESU_EEDaSP_SQ_EUlSP_E_NS1_11comp_targetILNS1_3genE5ELNS1_11target_archE942ELNS1_3gpuE9ELNS1_3repE0EEENS1_30default_config_static_selectorELNS0_4arch9wavefront6targetE0EEEvT1_ ; -- Begin function _ZN7rocprim17ROCPRIM_400000_NS6detail17trampoline_kernelINS0_14default_configENS1_20scan_config_selectorIiEEZZNS1_9scan_implILNS1_25lookback_scan_determinismE0ELb0ELb0ES3_N6thrust23THRUST_200600_302600_NS6detail15normal_iteratorINS9_10device_ptrIiEEEESE_iNS9_4plusIvEEiEEDaPvRmT3_T4_T5_mT6_P12ihipStream_tbENKUlT_T0_E_clISt17integral_constantIbLb1EESU_EEDaSP_SQ_EUlSP_E_NS1_11comp_targetILNS1_3genE5ELNS1_11target_archE942ELNS1_3gpuE9ELNS1_3repE0EEENS1_30default_config_static_selectorELNS0_4arch9wavefront6targetE0EEEvT1_
	.globl	_ZN7rocprim17ROCPRIM_400000_NS6detail17trampoline_kernelINS0_14default_configENS1_20scan_config_selectorIiEEZZNS1_9scan_implILNS1_25lookback_scan_determinismE0ELb0ELb0ES3_N6thrust23THRUST_200600_302600_NS6detail15normal_iteratorINS9_10device_ptrIiEEEESE_iNS9_4plusIvEEiEEDaPvRmT3_T4_T5_mT6_P12ihipStream_tbENKUlT_T0_E_clISt17integral_constantIbLb1EESU_EEDaSP_SQ_EUlSP_E_NS1_11comp_targetILNS1_3genE5ELNS1_11target_archE942ELNS1_3gpuE9ELNS1_3repE0EEENS1_30default_config_static_selectorELNS0_4arch9wavefront6targetE0EEEvT1_
	.p2align	8
	.type	_ZN7rocprim17ROCPRIM_400000_NS6detail17trampoline_kernelINS0_14default_configENS1_20scan_config_selectorIiEEZZNS1_9scan_implILNS1_25lookback_scan_determinismE0ELb0ELb0ES3_N6thrust23THRUST_200600_302600_NS6detail15normal_iteratorINS9_10device_ptrIiEEEESE_iNS9_4plusIvEEiEEDaPvRmT3_T4_T5_mT6_P12ihipStream_tbENKUlT_T0_E_clISt17integral_constantIbLb1EESU_EEDaSP_SQ_EUlSP_E_NS1_11comp_targetILNS1_3genE5ELNS1_11target_archE942ELNS1_3gpuE9ELNS1_3repE0EEENS1_30default_config_static_selectorELNS0_4arch9wavefront6targetE0EEEvT1_,@function
_ZN7rocprim17ROCPRIM_400000_NS6detail17trampoline_kernelINS0_14default_configENS1_20scan_config_selectorIiEEZZNS1_9scan_implILNS1_25lookback_scan_determinismE0ELb0ELb0ES3_N6thrust23THRUST_200600_302600_NS6detail15normal_iteratorINS9_10device_ptrIiEEEESE_iNS9_4plusIvEEiEEDaPvRmT3_T4_T5_mT6_P12ihipStream_tbENKUlT_T0_E_clISt17integral_constantIbLb1EESU_EEDaSP_SQ_EUlSP_E_NS1_11comp_targetILNS1_3genE5ELNS1_11target_archE942ELNS1_3gpuE9ELNS1_3repE0EEENS1_30default_config_static_selectorELNS0_4arch9wavefront6targetE0EEEvT1_: ; @_ZN7rocprim17ROCPRIM_400000_NS6detail17trampoline_kernelINS0_14default_configENS1_20scan_config_selectorIiEEZZNS1_9scan_implILNS1_25lookback_scan_determinismE0ELb0ELb0ES3_N6thrust23THRUST_200600_302600_NS6detail15normal_iteratorINS9_10device_ptrIiEEEESE_iNS9_4plusIvEEiEEDaPvRmT3_T4_T5_mT6_P12ihipStream_tbENKUlT_T0_E_clISt17integral_constantIbLb1EESU_EEDaSP_SQ_EUlSP_E_NS1_11comp_targetILNS1_3genE5ELNS1_11target_archE942ELNS1_3gpuE9ELNS1_3repE0EEENS1_30default_config_static_selectorELNS0_4arch9wavefront6targetE0EEEvT1_
; %bb.0:
	.section	.rodata,"a",@progbits
	.p2align	6, 0x0
	.amdhsa_kernel _ZN7rocprim17ROCPRIM_400000_NS6detail17trampoline_kernelINS0_14default_configENS1_20scan_config_selectorIiEEZZNS1_9scan_implILNS1_25lookback_scan_determinismE0ELb0ELb0ES3_N6thrust23THRUST_200600_302600_NS6detail15normal_iteratorINS9_10device_ptrIiEEEESE_iNS9_4plusIvEEiEEDaPvRmT3_T4_T5_mT6_P12ihipStream_tbENKUlT_T0_E_clISt17integral_constantIbLb1EESU_EEDaSP_SQ_EUlSP_E_NS1_11comp_targetILNS1_3genE5ELNS1_11target_archE942ELNS1_3gpuE9ELNS1_3repE0EEENS1_30default_config_static_selectorELNS0_4arch9wavefront6targetE0EEEvT1_
		.amdhsa_group_segment_fixed_size 0
		.amdhsa_private_segment_fixed_size 0
		.amdhsa_kernarg_size 96
		.amdhsa_user_sgpr_count 15
		.amdhsa_user_sgpr_dispatch_ptr 0
		.amdhsa_user_sgpr_queue_ptr 0
		.amdhsa_user_sgpr_kernarg_segment_ptr 1
		.amdhsa_user_sgpr_dispatch_id 0
		.amdhsa_user_sgpr_private_segment_size 0
		.amdhsa_wavefront_size32 1
		.amdhsa_uses_dynamic_stack 0
		.amdhsa_enable_private_segment 0
		.amdhsa_system_sgpr_workgroup_id_x 1
		.amdhsa_system_sgpr_workgroup_id_y 0
		.amdhsa_system_sgpr_workgroup_id_z 0
		.amdhsa_system_sgpr_workgroup_info 0
		.amdhsa_system_vgpr_workitem_id 0
		.amdhsa_next_free_vgpr 1
		.amdhsa_next_free_sgpr 1
		.amdhsa_reserve_vcc 0
		.amdhsa_float_round_mode_32 0
		.amdhsa_float_round_mode_16_64 0
		.amdhsa_float_denorm_mode_32 3
		.amdhsa_float_denorm_mode_16_64 3
		.amdhsa_dx10_clamp 1
		.amdhsa_ieee_mode 1
		.amdhsa_fp16_overflow 0
		.amdhsa_workgroup_processor_mode 1
		.amdhsa_memory_ordered 1
		.amdhsa_forward_progress 0
		.amdhsa_shared_vgpr_count 0
		.amdhsa_exception_fp_ieee_invalid_op 0
		.amdhsa_exception_fp_denorm_src 0
		.amdhsa_exception_fp_ieee_div_zero 0
		.amdhsa_exception_fp_ieee_overflow 0
		.amdhsa_exception_fp_ieee_underflow 0
		.amdhsa_exception_fp_ieee_inexact 0
		.amdhsa_exception_int_div_zero 0
	.end_amdhsa_kernel
	.section	.text._ZN7rocprim17ROCPRIM_400000_NS6detail17trampoline_kernelINS0_14default_configENS1_20scan_config_selectorIiEEZZNS1_9scan_implILNS1_25lookback_scan_determinismE0ELb0ELb0ES3_N6thrust23THRUST_200600_302600_NS6detail15normal_iteratorINS9_10device_ptrIiEEEESE_iNS9_4plusIvEEiEEDaPvRmT3_T4_T5_mT6_P12ihipStream_tbENKUlT_T0_E_clISt17integral_constantIbLb1EESU_EEDaSP_SQ_EUlSP_E_NS1_11comp_targetILNS1_3genE5ELNS1_11target_archE942ELNS1_3gpuE9ELNS1_3repE0EEENS1_30default_config_static_selectorELNS0_4arch9wavefront6targetE0EEEvT1_,"axG",@progbits,_ZN7rocprim17ROCPRIM_400000_NS6detail17trampoline_kernelINS0_14default_configENS1_20scan_config_selectorIiEEZZNS1_9scan_implILNS1_25lookback_scan_determinismE0ELb0ELb0ES3_N6thrust23THRUST_200600_302600_NS6detail15normal_iteratorINS9_10device_ptrIiEEEESE_iNS9_4plusIvEEiEEDaPvRmT3_T4_T5_mT6_P12ihipStream_tbENKUlT_T0_E_clISt17integral_constantIbLb1EESU_EEDaSP_SQ_EUlSP_E_NS1_11comp_targetILNS1_3genE5ELNS1_11target_archE942ELNS1_3gpuE9ELNS1_3repE0EEENS1_30default_config_static_selectorELNS0_4arch9wavefront6targetE0EEEvT1_,comdat
.Lfunc_end31:
	.size	_ZN7rocprim17ROCPRIM_400000_NS6detail17trampoline_kernelINS0_14default_configENS1_20scan_config_selectorIiEEZZNS1_9scan_implILNS1_25lookback_scan_determinismE0ELb0ELb0ES3_N6thrust23THRUST_200600_302600_NS6detail15normal_iteratorINS9_10device_ptrIiEEEESE_iNS9_4plusIvEEiEEDaPvRmT3_T4_T5_mT6_P12ihipStream_tbENKUlT_T0_E_clISt17integral_constantIbLb1EESU_EEDaSP_SQ_EUlSP_E_NS1_11comp_targetILNS1_3genE5ELNS1_11target_archE942ELNS1_3gpuE9ELNS1_3repE0EEENS1_30default_config_static_selectorELNS0_4arch9wavefront6targetE0EEEvT1_, .Lfunc_end31-_ZN7rocprim17ROCPRIM_400000_NS6detail17trampoline_kernelINS0_14default_configENS1_20scan_config_selectorIiEEZZNS1_9scan_implILNS1_25lookback_scan_determinismE0ELb0ELb0ES3_N6thrust23THRUST_200600_302600_NS6detail15normal_iteratorINS9_10device_ptrIiEEEESE_iNS9_4plusIvEEiEEDaPvRmT3_T4_T5_mT6_P12ihipStream_tbENKUlT_T0_E_clISt17integral_constantIbLb1EESU_EEDaSP_SQ_EUlSP_E_NS1_11comp_targetILNS1_3genE5ELNS1_11target_archE942ELNS1_3gpuE9ELNS1_3repE0EEENS1_30default_config_static_selectorELNS0_4arch9wavefront6targetE0EEEvT1_
                                        ; -- End function
	.section	.AMDGPU.csdata,"",@progbits
; Kernel info:
; codeLenInByte = 0
; NumSgprs: 0
; NumVgprs: 0
; ScratchSize: 0
; MemoryBound: 0
; FloatMode: 240
; IeeeMode: 1
; LDSByteSize: 0 bytes/workgroup (compile time only)
; SGPRBlocks: 0
; VGPRBlocks: 0
; NumSGPRsForWavesPerEU: 1
; NumVGPRsForWavesPerEU: 1
; Occupancy: 16
; WaveLimiterHint : 0
; COMPUTE_PGM_RSRC2:SCRATCH_EN: 0
; COMPUTE_PGM_RSRC2:USER_SGPR: 15
; COMPUTE_PGM_RSRC2:TRAP_HANDLER: 0
; COMPUTE_PGM_RSRC2:TGID_X_EN: 1
; COMPUTE_PGM_RSRC2:TGID_Y_EN: 0
; COMPUTE_PGM_RSRC2:TGID_Z_EN: 0
; COMPUTE_PGM_RSRC2:TIDIG_COMP_CNT: 0
	.section	.text._ZN7rocprim17ROCPRIM_400000_NS6detail17trampoline_kernelINS0_14default_configENS1_20scan_config_selectorIiEEZZNS1_9scan_implILNS1_25lookback_scan_determinismE0ELb0ELb0ES3_N6thrust23THRUST_200600_302600_NS6detail15normal_iteratorINS9_10device_ptrIiEEEESE_iNS9_4plusIvEEiEEDaPvRmT3_T4_T5_mT6_P12ihipStream_tbENKUlT_T0_E_clISt17integral_constantIbLb1EESU_EEDaSP_SQ_EUlSP_E_NS1_11comp_targetILNS1_3genE4ELNS1_11target_archE910ELNS1_3gpuE8ELNS1_3repE0EEENS1_30default_config_static_selectorELNS0_4arch9wavefront6targetE0EEEvT1_,"axG",@progbits,_ZN7rocprim17ROCPRIM_400000_NS6detail17trampoline_kernelINS0_14default_configENS1_20scan_config_selectorIiEEZZNS1_9scan_implILNS1_25lookback_scan_determinismE0ELb0ELb0ES3_N6thrust23THRUST_200600_302600_NS6detail15normal_iteratorINS9_10device_ptrIiEEEESE_iNS9_4plusIvEEiEEDaPvRmT3_T4_T5_mT6_P12ihipStream_tbENKUlT_T0_E_clISt17integral_constantIbLb1EESU_EEDaSP_SQ_EUlSP_E_NS1_11comp_targetILNS1_3genE4ELNS1_11target_archE910ELNS1_3gpuE8ELNS1_3repE0EEENS1_30default_config_static_selectorELNS0_4arch9wavefront6targetE0EEEvT1_,comdat
	.protected	_ZN7rocprim17ROCPRIM_400000_NS6detail17trampoline_kernelINS0_14default_configENS1_20scan_config_selectorIiEEZZNS1_9scan_implILNS1_25lookback_scan_determinismE0ELb0ELb0ES3_N6thrust23THRUST_200600_302600_NS6detail15normal_iteratorINS9_10device_ptrIiEEEESE_iNS9_4plusIvEEiEEDaPvRmT3_T4_T5_mT6_P12ihipStream_tbENKUlT_T0_E_clISt17integral_constantIbLb1EESU_EEDaSP_SQ_EUlSP_E_NS1_11comp_targetILNS1_3genE4ELNS1_11target_archE910ELNS1_3gpuE8ELNS1_3repE0EEENS1_30default_config_static_selectorELNS0_4arch9wavefront6targetE0EEEvT1_ ; -- Begin function _ZN7rocprim17ROCPRIM_400000_NS6detail17trampoline_kernelINS0_14default_configENS1_20scan_config_selectorIiEEZZNS1_9scan_implILNS1_25lookback_scan_determinismE0ELb0ELb0ES3_N6thrust23THRUST_200600_302600_NS6detail15normal_iteratorINS9_10device_ptrIiEEEESE_iNS9_4plusIvEEiEEDaPvRmT3_T4_T5_mT6_P12ihipStream_tbENKUlT_T0_E_clISt17integral_constantIbLb1EESU_EEDaSP_SQ_EUlSP_E_NS1_11comp_targetILNS1_3genE4ELNS1_11target_archE910ELNS1_3gpuE8ELNS1_3repE0EEENS1_30default_config_static_selectorELNS0_4arch9wavefront6targetE0EEEvT1_
	.globl	_ZN7rocprim17ROCPRIM_400000_NS6detail17trampoline_kernelINS0_14default_configENS1_20scan_config_selectorIiEEZZNS1_9scan_implILNS1_25lookback_scan_determinismE0ELb0ELb0ES3_N6thrust23THRUST_200600_302600_NS6detail15normal_iteratorINS9_10device_ptrIiEEEESE_iNS9_4plusIvEEiEEDaPvRmT3_T4_T5_mT6_P12ihipStream_tbENKUlT_T0_E_clISt17integral_constantIbLb1EESU_EEDaSP_SQ_EUlSP_E_NS1_11comp_targetILNS1_3genE4ELNS1_11target_archE910ELNS1_3gpuE8ELNS1_3repE0EEENS1_30default_config_static_selectorELNS0_4arch9wavefront6targetE0EEEvT1_
	.p2align	8
	.type	_ZN7rocprim17ROCPRIM_400000_NS6detail17trampoline_kernelINS0_14default_configENS1_20scan_config_selectorIiEEZZNS1_9scan_implILNS1_25lookback_scan_determinismE0ELb0ELb0ES3_N6thrust23THRUST_200600_302600_NS6detail15normal_iteratorINS9_10device_ptrIiEEEESE_iNS9_4plusIvEEiEEDaPvRmT3_T4_T5_mT6_P12ihipStream_tbENKUlT_T0_E_clISt17integral_constantIbLb1EESU_EEDaSP_SQ_EUlSP_E_NS1_11comp_targetILNS1_3genE4ELNS1_11target_archE910ELNS1_3gpuE8ELNS1_3repE0EEENS1_30default_config_static_selectorELNS0_4arch9wavefront6targetE0EEEvT1_,@function
_ZN7rocprim17ROCPRIM_400000_NS6detail17trampoline_kernelINS0_14default_configENS1_20scan_config_selectorIiEEZZNS1_9scan_implILNS1_25lookback_scan_determinismE0ELb0ELb0ES3_N6thrust23THRUST_200600_302600_NS6detail15normal_iteratorINS9_10device_ptrIiEEEESE_iNS9_4plusIvEEiEEDaPvRmT3_T4_T5_mT6_P12ihipStream_tbENKUlT_T0_E_clISt17integral_constantIbLb1EESU_EEDaSP_SQ_EUlSP_E_NS1_11comp_targetILNS1_3genE4ELNS1_11target_archE910ELNS1_3gpuE8ELNS1_3repE0EEENS1_30default_config_static_selectorELNS0_4arch9wavefront6targetE0EEEvT1_: ; @_ZN7rocprim17ROCPRIM_400000_NS6detail17trampoline_kernelINS0_14default_configENS1_20scan_config_selectorIiEEZZNS1_9scan_implILNS1_25lookback_scan_determinismE0ELb0ELb0ES3_N6thrust23THRUST_200600_302600_NS6detail15normal_iteratorINS9_10device_ptrIiEEEESE_iNS9_4plusIvEEiEEDaPvRmT3_T4_T5_mT6_P12ihipStream_tbENKUlT_T0_E_clISt17integral_constantIbLb1EESU_EEDaSP_SQ_EUlSP_E_NS1_11comp_targetILNS1_3genE4ELNS1_11target_archE910ELNS1_3gpuE8ELNS1_3repE0EEENS1_30default_config_static_selectorELNS0_4arch9wavefront6targetE0EEEvT1_
; %bb.0:
	.section	.rodata,"a",@progbits
	.p2align	6, 0x0
	.amdhsa_kernel _ZN7rocprim17ROCPRIM_400000_NS6detail17trampoline_kernelINS0_14default_configENS1_20scan_config_selectorIiEEZZNS1_9scan_implILNS1_25lookback_scan_determinismE0ELb0ELb0ES3_N6thrust23THRUST_200600_302600_NS6detail15normal_iteratorINS9_10device_ptrIiEEEESE_iNS9_4plusIvEEiEEDaPvRmT3_T4_T5_mT6_P12ihipStream_tbENKUlT_T0_E_clISt17integral_constantIbLb1EESU_EEDaSP_SQ_EUlSP_E_NS1_11comp_targetILNS1_3genE4ELNS1_11target_archE910ELNS1_3gpuE8ELNS1_3repE0EEENS1_30default_config_static_selectorELNS0_4arch9wavefront6targetE0EEEvT1_
		.amdhsa_group_segment_fixed_size 0
		.amdhsa_private_segment_fixed_size 0
		.amdhsa_kernarg_size 96
		.amdhsa_user_sgpr_count 15
		.amdhsa_user_sgpr_dispatch_ptr 0
		.amdhsa_user_sgpr_queue_ptr 0
		.amdhsa_user_sgpr_kernarg_segment_ptr 1
		.amdhsa_user_sgpr_dispatch_id 0
		.amdhsa_user_sgpr_private_segment_size 0
		.amdhsa_wavefront_size32 1
		.amdhsa_uses_dynamic_stack 0
		.amdhsa_enable_private_segment 0
		.amdhsa_system_sgpr_workgroup_id_x 1
		.amdhsa_system_sgpr_workgroup_id_y 0
		.amdhsa_system_sgpr_workgroup_id_z 0
		.amdhsa_system_sgpr_workgroup_info 0
		.amdhsa_system_vgpr_workitem_id 0
		.amdhsa_next_free_vgpr 1
		.amdhsa_next_free_sgpr 1
		.amdhsa_reserve_vcc 0
		.amdhsa_float_round_mode_32 0
		.amdhsa_float_round_mode_16_64 0
		.amdhsa_float_denorm_mode_32 3
		.amdhsa_float_denorm_mode_16_64 3
		.amdhsa_dx10_clamp 1
		.amdhsa_ieee_mode 1
		.amdhsa_fp16_overflow 0
		.amdhsa_workgroup_processor_mode 1
		.amdhsa_memory_ordered 1
		.amdhsa_forward_progress 0
		.amdhsa_shared_vgpr_count 0
		.amdhsa_exception_fp_ieee_invalid_op 0
		.amdhsa_exception_fp_denorm_src 0
		.amdhsa_exception_fp_ieee_div_zero 0
		.amdhsa_exception_fp_ieee_overflow 0
		.amdhsa_exception_fp_ieee_underflow 0
		.amdhsa_exception_fp_ieee_inexact 0
		.amdhsa_exception_int_div_zero 0
	.end_amdhsa_kernel
	.section	.text._ZN7rocprim17ROCPRIM_400000_NS6detail17trampoline_kernelINS0_14default_configENS1_20scan_config_selectorIiEEZZNS1_9scan_implILNS1_25lookback_scan_determinismE0ELb0ELb0ES3_N6thrust23THRUST_200600_302600_NS6detail15normal_iteratorINS9_10device_ptrIiEEEESE_iNS9_4plusIvEEiEEDaPvRmT3_T4_T5_mT6_P12ihipStream_tbENKUlT_T0_E_clISt17integral_constantIbLb1EESU_EEDaSP_SQ_EUlSP_E_NS1_11comp_targetILNS1_3genE4ELNS1_11target_archE910ELNS1_3gpuE8ELNS1_3repE0EEENS1_30default_config_static_selectorELNS0_4arch9wavefront6targetE0EEEvT1_,"axG",@progbits,_ZN7rocprim17ROCPRIM_400000_NS6detail17trampoline_kernelINS0_14default_configENS1_20scan_config_selectorIiEEZZNS1_9scan_implILNS1_25lookback_scan_determinismE0ELb0ELb0ES3_N6thrust23THRUST_200600_302600_NS6detail15normal_iteratorINS9_10device_ptrIiEEEESE_iNS9_4plusIvEEiEEDaPvRmT3_T4_T5_mT6_P12ihipStream_tbENKUlT_T0_E_clISt17integral_constantIbLb1EESU_EEDaSP_SQ_EUlSP_E_NS1_11comp_targetILNS1_3genE4ELNS1_11target_archE910ELNS1_3gpuE8ELNS1_3repE0EEENS1_30default_config_static_selectorELNS0_4arch9wavefront6targetE0EEEvT1_,comdat
.Lfunc_end32:
	.size	_ZN7rocprim17ROCPRIM_400000_NS6detail17trampoline_kernelINS0_14default_configENS1_20scan_config_selectorIiEEZZNS1_9scan_implILNS1_25lookback_scan_determinismE0ELb0ELb0ES3_N6thrust23THRUST_200600_302600_NS6detail15normal_iteratorINS9_10device_ptrIiEEEESE_iNS9_4plusIvEEiEEDaPvRmT3_T4_T5_mT6_P12ihipStream_tbENKUlT_T0_E_clISt17integral_constantIbLb1EESU_EEDaSP_SQ_EUlSP_E_NS1_11comp_targetILNS1_3genE4ELNS1_11target_archE910ELNS1_3gpuE8ELNS1_3repE0EEENS1_30default_config_static_selectorELNS0_4arch9wavefront6targetE0EEEvT1_, .Lfunc_end32-_ZN7rocprim17ROCPRIM_400000_NS6detail17trampoline_kernelINS0_14default_configENS1_20scan_config_selectorIiEEZZNS1_9scan_implILNS1_25lookback_scan_determinismE0ELb0ELb0ES3_N6thrust23THRUST_200600_302600_NS6detail15normal_iteratorINS9_10device_ptrIiEEEESE_iNS9_4plusIvEEiEEDaPvRmT3_T4_T5_mT6_P12ihipStream_tbENKUlT_T0_E_clISt17integral_constantIbLb1EESU_EEDaSP_SQ_EUlSP_E_NS1_11comp_targetILNS1_3genE4ELNS1_11target_archE910ELNS1_3gpuE8ELNS1_3repE0EEENS1_30default_config_static_selectorELNS0_4arch9wavefront6targetE0EEEvT1_
                                        ; -- End function
	.section	.AMDGPU.csdata,"",@progbits
; Kernel info:
; codeLenInByte = 0
; NumSgprs: 0
; NumVgprs: 0
; ScratchSize: 0
; MemoryBound: 0
; FloatMode: 240
; IeeeMode: 1
; LDSByteSize: 0 bytes/workgroup (compile time only)
; SGPRBlocks: 0
; VGPRBlocks: 0
; NumSGPRsForWavesPerEU: 1
; NumVGPRsForWavesPerEU: 1
; Occupancy: 16
; WaveLimiterHint : 0
; COMPUTE_PGM_RSRC2:SCRATCH_EN: 0
; COMPUTE_PGM_RSRC2:USER_SGPR: 15
; COMPUTE_PGM_RSRC2:TRAP_HANDLER: 0
; COMPUTE_PGM_RSRC2:TGID_X_EN: 1
; COMPUTE_PGM_RSRC2:TGID_Y_EN: 0
; COMPUTE_PGM_RSRC2:TGID_Z_EN: 0
; COMPUTE_PGM_RSRC2:TIDIG_COMP_CNT: 0
	.section	.text._ZN7rocprim17ROCPRIM_400000_NS6detail17trampoline_kernelINS0_14default_configENS1_20scan_config_selectorIiEEZZNS1_9scan_implILNS1_25lookback_scan_determinismE0ELb0ELb0ES3_N6thrust23THRUST_200600_302600_NS6detail15normal_iteratorINS9_10device_ptrIiEEEESE_iNS9_4plusIvEEiEEDaPvRmT3_T4_T5_mT6_P12ihipStream_tbENKUlT_T0_E_clISt17integral_constantIbLb1EESU_EEDaSP_SQ_EUlSP_E_NS1_11comp_targetILNS1_3genE3ELNS1_11target_archE908ELNS1_3gpuE7ELNS1_3repE0EEENS1_30default_config_static_selectorELNS0_4arch9wavefront6targetE0EEEvT1_,"axG",@progbits,_ZN7rocprim17ROCPRIM_400000_NS6detail17trampoline_kernelINS0_14default_configENS1_20scan_config_selectorIiEEZZNS1_9scan_implILNS1_25lookback_scan_determinismE0ELb0ELb0ES3_N6thrust23THRUST_200600_302600_NS6detail15normal_iteratorINS9_10device_ptrIiEEEESE_iNS9_4plusIvEEiEEDaPvRmT3_T4_T5_mT6_P12ihipStream_tbENKUlT_T0_E_clISt17integral_constantIbLb1EESU_EEDaSP_SQ_EUlSP_E_NS1_11comp_targetILNS1_3genE3ELNS1_11target_archE908ELNS1_3gpuE7ELNS1_3repE0EEENS1_30default_config_static_selectorELNS0_4arch9wavefront6targetE0EEEvT1_,comdat
	.protected	_ZN7rocprim17ROCPRIM_400000_NS6detail17trampoline_kernelINS0_14default_configENS1_20scan_config_selectorIiEEZZNS1_9scan_implILNS1_25lookback_scan_determinismE0ELb0ELb0ES3_N6thrust23THRUST_200600_302600_NS6detail15normal_iteratorINS9_10device_ptrIiEEEESE_iNS9_4plusIvEEiEEDaPvRmT3_T4_T5_mT6_P12ihipStream_tbENKUlT_T0_E_clISt17integral_constantIbLb1EESU_EEDaSP_SQ_EUlSP_E_NS1_11comp_targetILNS1_3genE3ELNS1_11target_archE908ELNS1_3gpuE7ELNS1_3repE0EEENS1_30default_config_static_selectorELNS0_4arch9wavefront6targetE0EEEvT1_ ; -- Begin function _ZN7rocprim17ROCPRIM_400000_NS6detail17trampoline_kernelINS0_14default_configENS1_20scan_config_selectorIiEEZZNS1_9scan_implILNS1_25lookback_scan_determinismE0ELb0ELb0ES3_N6thrust23THRUST_200600_302600_NS6detail15normal_iteratorINS9_10device_ptrIiEEEESE_iNS9_4plusIvEEiEEDaPvRmT3_T4_T5_mT6_P12ihipStream_tbENKUlT_T0_E_clISt17integral_constantIbLb1EESU_EEDaSP_SQ_EUlSP_E_NS1_11comp_targetILNS1_3genE3ELNS1_11target_archE908ELNS1_3gpuE7ELNS1_3repE0EEENS1_30default_config_static_selectorELNS0_4arch9wavefront6targetE0EEEvT1_
	.globl	_ZN7rocprim17ROCPRIM_400000_NS6detail17trampoline_kernelINS0_14default_configENS1_20scan_config_selectorIiEEZZNS1_9scan_implILNS1_25lookback_scan_determinismE0ELb0ELb0ES3_N6thrust23THRUST_200600_302600_NS6detail15normal_iteratorINS9_10device_ptrIiEEEESE_iNS9_4plusIvEEiEEDaPvRmT3_T4_T5_mT6_P12ihipStream_tbENKUlT_T0_E_clISt17integral_constantIbLb1EESU_EEDaSP_SQ_EUlSP_E_NS1_11comp_targetILNS1_3genE3ELNS1_11target_archE908ELNS1_3gpuE7ELNS1_3repE0EEENS1_30default_config_static_selectorELNS0_4arch9wavefront6targetE0EEEvT1_
	.p2align	8
	.type	_ZN7rocprim17ROCPRIM_400000_NS6detail17trampoline_kernelINS0_14default_configENS1_20scan_config_selectorIiEEZZNS1_9scan_implILNS1_25lookback_scan_determinismE0ELb0ELb0ES3_N6thrust23THRUST_200600_302600_NS6detail15normal_iteratorINS9_10device_ptrIiEEEESE_iNS9_4plusIvEEiEEDaPvRmT3_T4_T5_mT6_P12ihipStream_tbENKUlT_T0_E_clISt17integral_constantIbLb1EESU_EEDaSP_SQ_EUlSP_E_NS1_11comp_targetILNS1_3genE3ELNS1_11target_archE908ELNS1_3gpuE7ELNS1_3repE0EEENS1_30default_config_static_selectorELNS0_4arch9wavefront6targetE0EEEvT1_,@function
_ZN7rocprim17ROCPRIM_400000_NS6detail17trampoline_kernelINS0_14default_configENS1_20scan_config_selectorIiEEZZNS1_9scan_implILNS1_25lookback_scan_determinismE0ELb0ELb0ES3_N6thrust23THRUST_200600_302600_NS6detail15normal_iteratorINS9_10device_ptrIiEEEESE_iNS9_4plusIvEEiEEDaPvRmT3_T4_T5_mT6_P12ihipStream_tbENKUlT_T0_E_clISt17integral_constantIbLb1EESU_EEDaSP_SQ_EUlSP_E_NS1_11comp_targetILNS1_3genE3ELNS1_11target_archE908ELNS1_3gpuE7ELNS1_3repE0EEENS1_30default_config_static_selectorELNS0_4arch9wavefront6targetE0EEEvT1_: ; @_ZN7rocprim17ROCPRIM_400000_NS6detail17trampoline_kernelINS0_14default_configENS1_20scan_config_selectorIiEEZZNS1_9scan_implILNS1_25lookback_scan_determinismE0ELb0ELb0ES3_N6thrust23THRUST_200600_302600_NS6detail15normal_iteratorINS9_10device_ptrIiEEEESE_iNS9_4plusIvEEiEEDaPvRmT3_T4_T5_mT6_P12ihipStream_tbENKUlT_T0_E_clISt17integral_constantIbLb1EESU_EEDaSP_SQ_EUlSP_E_NS1_11comp_targetILNS1_3genE3ELNS1_11target_archE908ELNS1_3gpuE7ELNS1_3repE0EEENS1_30default_config_static_selectorELNS0_4arch9wavefront6targetE0EEEvT1_
; %bb.0:
	.section	.rodata,"a",@progbits
	.p2align	6, 0x0
	.amdhsa_kernel _ZN7rocprim17ROCPRIM_400000_NS6detail17trampoline_kernelINS0_14default_configENS1_20scan_config_selectorIiEEZZNS1_9scan_implILNS1_25lookback_scan_determinismE0ELb0ELb0ES3_N6thrust23THRUST_200600_302600_NS6detail15normal_iteratorINS9_10device_ptrIiEEEESE_iNS9_4plusIvEEiEEDaPvRmT3_T4_T5_mT6_P12ihipStream_tbENKUlT_T0_E_clISt17integral_constantIbLb1EESU_EEDaSP_SQ_EUlSP_E_NS1_11comp_targetILNS1_3genE3ELNS1_11target_archE908ELNS1_3gpuE7ELNS1_3repE0EEENS1_30default_config_static_selectorELNS0_4arch9wavefront6targetE0EEEvT1_
		.amdhsa_group_segment_fixed_size 0
		.amdhsa_private_segment_fixed_size 0
		.amdhsa_kernarg_size 96
		.amdhsa_user_sgpr_count 15
		.amdhsa_user_sgpr_dispatch_ptr 0
		.amdhsa_user_sgpr_queue_ptr 0
		.amdhsa_user_sgpr_kernarg_segment_ptr 1
		.amdhsa_user_sgpr_dispatch_id 0
		.amdhsa_user_sgpr_private_segment_size 0
		.amdhsa_wavefront_size32 1
		.amdhsa_uses_dynamic_stack 0
		.amdhsa_enable_private_segment 0
		.amdhsa_system_sgpr_workgroup_id_x 1
		.amdhsa_system_sgpr_workgroup_id_y 0
		.amdhsa_system_sgpr_workgroup_id_z 0
		.amdhsa_system_sgpr_workgroup_info 0
		.amdhsa_system_vgpr_workitem_id 0
		.amdhsa_next_free_vgpr 1
		.amdhsa_next_free_sgpr 1
		.amdhsa_reserve_vcc 0
		.amdhsa_float_round_mode_32 0
		.amdhsa_float_round_mode_16_64 0
		.amdhsa_float_denorm_mode_32 3
		.amdhsa_float_denorm_mode_16_64 3
		.amdhsa_dx10_clamp 1
		.amdhsa_ieee_mode 1
		.amdhsa_fp16_overflow 0
		.amdhsa_workgroup_processor_mode 1
		.amdhsa_memory_ordered 1
		.amdhsa_forward_progress 0
		.amdhsa_shared_vgpr_count 0
		.amdhsa_exception_fp_ieee_invalid_op 0
		.amdhsa_exception_fp_denorm_src 0
		.amdhsa_exception_fp_ieee_div_zero 0
		.amdhsa_exception_fp_ieee_overflow 0
		.amdhsa_exception_fp_ieee_underflow 0
		.amdhsa_exception_fp_ieee_inexact 0
		.amdhsa_exception_int_div_zero 0
	.end_amdhsa_kernel
	.section	.text._ZN7rocprim17ROCPRIM_400000_NS6detail17trampoline_kernelINS0_14default_configENS1_20scan_config_selectorIiEEZZNS1_9scan_implILNS1_25lookback_scan_determinismE0ELb0ELb0ES3_N6thrust23THRUST_200600_302600_NS6detail15normal_iteratorINS9_10device_ptrIiEEEESE_iNS9_4plusIvEEiEEDaPvRmT3_T4_T5_mT6_P12ihipStream_tbENKUlT_T0_E_clISt17integral_constantIbLb1EESU_EEDaSP_SQ_EUlSP_E_NS1_11comp_targetILNS1_3genE3ELNS1_11target_archE908ELNS1_3gpuE7ELNS1_3repE0EEENS1_30default_config_static_selectorELNS0_4arch9wavefront6targetE0EEEvT1_,"axG",@progbits,_ZN7rocprim17ROCPRIM_400000_NS6detail17trampoline_kernelINS0_14default_configENS1_20scan_config_selectorIiEEZZNS1_9scan_implILNS1_25lookback_scan_determinismE0ELb0ELb0ES3_N6thrust23THRUST_200600_302600_NS6detail15normal_iteratorINS9_10device_ptrIiEEEESE_iNS9_4plusIvEEiEEDaPvRmT3_T4_T5_mT6_P12ihipStream_tbENKUlT_T0_E_clISt17integral_constantIbLb1EESU_EEDaSP_SQ_EUlSP_E_NS1_11comp_targetILNS1_3genE3ELNS1_11target_archE908ELNS1_3gpuE7ELNS1_3repE0EEENS1_30default_config_static_selectorELNS0_4arch9wavefront6targetE0EEEvT1_,comdat
.Lfunc_end33:
	.size	_ZN7rocprim17ROCPRIM_400000_NS6detail17trampoline_kernelINS0_14default_configENS1_20scan_config_selectorIiEEZZNS1_9scan_implILNS1_25lookback_scan_determinismE0ELb0ELb0ES3_N6thrust23THRUST_200600_302600_NS6detail15normal_iteratorINS9_10device_ptrIiEEEESE_iNS9_4plusIvEEiEEDaPvRmT3_T4_T5_mT6_P12ihipStream_tbENKUlT_T0_E_clISt17integral_constantIbLb1EESU_EEDaSP_SQ_EUlSP_E_NS1_11comp_targetILNS1_3genE3ELNS1_11target_archE908ELNS1_3gpuE7ELNS1_3repE0EEENS1_30default_config_static_selectorELNS0_4arch9wavefront6targetE0EEEvT1_, .Lfunc_end33-_ZN7rocprim17ROCPRIM_400000_NS6detail17trampoline_kernelINS0_14default_configENS1_20scan_config_selectorIiEEZZNS1_9scan_implILNS1_25lookback_scan_determinismE0ELb0ELb0ES3_N6thrust23THRUST_200600_302600_NS6detail15normal_iteratorINS9_10device_ptrIiEEEESE_iNS9_4plusIvEEiEEDaPvRmT3_T4_T5_mT6_P12ihipStream_tbENKUlT_T0_E_clISt17integral_constantIbLb1EESU_EEDaSP_SQ_EUlSP_E_NS1_11comp_targetILNS1_3genE3ELNS1_11target_archE908ELNS1_3gpuE7ELNS1_3repE0EEENS1_30default_config_static_selectorELNS0_4arch9wavefront6targetE0EEEvT1_
                                        ; -- End function
	.section	.AMDGPU.csdata,"",@progbits
; Kernel info:
; codeLenInByte = 0
; NumSgprs: 0
; NumVgprs: 0
; ScratchSize: 0
; MemoryBound: 0
; FloatMode: 240
; IeeeMode: 1
; LDSByteSize: 0 bytes/workgroup (compile time only)
; SGPRBlocks: 0
; VGPRBlocks: 0
; NumSGPRsForWavesPerEU: 1
; NumVGPRsForWavesPerEU: 1
; Occupancy: 16
; WaveLimiterHint : 0
; COMPUTE_PGM_RSRC2:SCRATCH_EN: 0
; COMPUTE_PGM_RSRC2:USER_SGPR: 15
; COMPUTE_PGM_RSRC2:TRAP_HANDLER: 0
; COMPUTE_PGM_RSRC2:TGID_X_EN: 1
; COMPUTE_PGM_RSRC2:TGID_Y_EN: 0
; COMPUTE_PGM_RSRC2:TGID_Z_EN: 0
; COMPUTE_PGM_RSRC2:TIDIG_COMP_CNT: 0
	.section	.text._ZN7rocprim17ROCPRIM_400000_NS6detail17trampoline_kernelINS0_14default_configENS1_20scan_config_selectorIiEEZZNS1_9scan_implILNS1_25lookback_scan_determinismE0ELb0ELb0ES3_N6thrust23THRUST_200600_302600_NS6detail15normal_iteratorINS9_10device_ptrIiEEEESE_iNS9_4plusIvEEiEEDaPvRmT3_T4_T5_mT6_P12ihipStream_tbENKUlT_T0_E_clISt17integral_constantIbLb1EESU_EEDaSP_SQ_EUlSP_E_NS1_11comp_targetILNS1_3genE2ELNS1_11target_archE906ELNS1_3gpuE6ELNS1_3repE0EEENS1_30default_config_static_selectorELNS0_4arch9wavefront6targetE0EEEvT1_,"axG",@progbits,_ZN7rocprim17ROCPRIM_400000_NS6detail17trampoline_kernelINS0_14default_configENS1_20scan_config_selectorIiEEZZNS1_9scan_implILNS1_25lookback_scan_determinismE0ELb0ELb0ES3_N6thrust23THRUST_200600_302600_NS6detail15normal_iteratorINS9_10device_ptrIiEEEESE_iNS9_4plusIvEEiEEDaPvRmT3_T4_T5_mT6_P12ihipStream_tbENKUlT_T0_E_clISt17integral_constantIbLb1EESU_EEDaSP_SQ_EUlSP_E_NS1_11comp_targetILNS1_3genE2ELNS1_11target_archE906ELNS1_3gpuE6ELNS1_3repE0EEENS1_30default_config_static_selectorELNS0_4arch9wavefront6targetE0EEEvT1_,comdat
	.protected	_ZN7rocprim17ROCPRIM_400000_NS6detail17trampoline_kernelINS0_14default_configENS1_20scan_config_selectorIiEEZZNS1_9scan_implILNS1_25lookback_scan_determinismE0ELb0ELb0ES3_N6thrust23THRUST_200600_302600_NS6detail15normal_iteratorINS9_10device_ptrIiEEEESE_iNS9_4plusIvEEiEEDaPvRmT3_T4_T5_mT6_P12ihipStream_tbENKUlT_T0_E_clISt17integral_constantIbLb1EESU_EEDaSP_SQ_EUlSP_E_NS1_11comp_targetILNS1_3genE2ELNS1_11target_archE906ELNS1_3gpuE6ELNS1_3repE0EEENS1_30default_config_static_selectorELNS0_4arch9wavefront6targetE0EEEvT1_ ; -- Begin function _ZN7rocprim17ROCPRIM_400000_NS6detail17trampoline_kernelINS0_14default_configENS1_20scan_config_selectorIiEEZZNS1_9scan_implILNS1_25lookback_scan_determinismE0ELb0ELb0ES3_N6thrust23THRUST_200600_302600_NS6detail15normal_iteratorINS9_10device_ptrIiEEEESE_iNS9_4plusIvEEiEEDaPvRmT3_T4_T5_mT6_P12ihipStream_tbENKUlT_T0_E_clISt17integral_constantIbLb1EESU_EEDaSP_SQ_EUlSP_E_NS1_11comp_targetILNS1_3genE2ELNS1_11target_archE906ELNS1_3gpuE6ELNS1_3repE0EEENS1_30default_config_static_selectorELNS0_4arch9wavefront6targetE0EEEvT1_
	.globl	_ZN7rocprim17ROCPRIM_400000_NS6detail17trampoline_kernelINS0_14default_configENS1_20scan_config_selectorIiEEZZNS1_9scan_implILNS1_25lookback_scan_determinismE0ELb0ELb0ES3_N6thrust23THRUST_200600_302600_NS6detail15normal_iteratorINS9_10device_ptrIiEEEESE_iNS9_4plusIvEEiEEDaPvRmT3_T4_T5_mT6_P12ihipStream_tbENKUlT_T0_E_clISt17integral_constantIbLb1EESU_EEDaSP_SQ_EUlSP_E_NS1_11comp_targetILNS1_3genE2ELNS1_11target_archE906ELNS1_3gpuE6ELNS1_3repE0EEENS1_30default_config_static_selectorELNS0_4arch9wavefront6targetE0EEEvT1_
	.p2align	8
	.type	_ZN7rocprim17ROCPRIM_400000_NS6detail17trampoline_kernelINS0_14default_configENS1_20scan_config_selectorIiEEZZNS1_9scan_implILNS1_25lookback_scan_determinismE0ELb0ELb0ES3_N6thrust23THRUST_200600_302600_NS6detail15normal_iteratorINS9_10device_ptrIiEEEESE_iNS9_4plusIvEEiEEDaPvRmT3_T4_T5_mT6_P12ihipStream_tbENKUlT_T0_E_clISt17integral_constantIbLb1EESU_EEDaSP_SQ_EUlSP_E_NS1_11comp_targetILNS1_3genE2ELNS1_11target_archE906ELNS1_3gpuE6ELNS1_3repE0EEENS1_30default_config_static_selectorELNS0_4arch9wavefront6targetE0EEEvT1_,@function
_ZN7rocprim17ROCPRIM_400000_NS6detail17trampoline_kernelINS0_14default_configENS1_20scan_config_selectorIiEEZZNS1_9scan_implILNS1_25lookback_scan_determinismE0ELb0ELb0ES3_N6thrust23THRUST_200600_302600_NS6detail15normal_iteratorINS9_10device_ptrIiEEEESE_iNS9_4plusIvEEiEEDaPvRmT3_T4_T5_mT6_P12ihipStream_tbENKUlT_T0_E_clISt17integral_constantIbLb1EESU_EEDaSP_SQ_EUlSP_E_NS1_11comp_targetILNS1_3genE2ELNS1_11target_archE906ELNS1_3gpuE6ELNS1_3repE0EEENS1_30default_config_static_selectorELNS0_4arch9wavefront6targetE0EEEvT1_: ; @_ZN7rocprim17ROCPRIM_400000_NS6detail17trampoline_kernelINS0_14default_configENS1_20scan_config_selectorIiEEZZNS1_9scan_implILNS1_25lookback_scan_determinismE0ELb0ELb0ES3_N6thrust23THRUST_200600_302600_NS6detail15normal_iteratorINS9_10device_ptrIiEEEESE_iNS9_4plusIvEEiEEDaPvRmT3_T4_T5_mT6_P12ihipStream_tbENKUlT_T0_E_clISt17integral_constantIbLb1EESU_EEDaSP_SQ_EUlSP_E_NS1_11comp_targetILNS1_3genE2ELNS1_11target_archE906ELNS1_3gpuE6ELNS1_3repE0EEENS1_30default_config_static_selectorELNS0_4arch9wavefront6targetE0EEEvT1_
; %bb.0:
	.section	.rodata,"a",@progbits
	.p2align	6, 0x0
	.amdhsa_kernel _ZN7rocprim17ROCPRIM_400000_NS6detail17trampoline_kernelINS0_14default_configENS1_20scan_config_selectorIiEEZZNS1_9scan_implILNS1_25lookback_scan_determinismE0ELb0ELb0ES3_N6thrust23THRUST_200600_302600_NS6detail15normal_iteratorINS9_10device_ptrIiEEEESE_iNS9_4plusIvEEiEEDaPvRmT3_T4_T5_mT6_P12ihipStream_tbENKUlT_T0_E_clISt17integral_constantIbLb1EESU_EEDaSP_SQ_EUlSP_E_NS1_11comp_targetILNS1_3genE2ELNS1_11target_archE906ELNS1_3gpuE6ELNS1_3repE0EEENS1_30default_config_static_selectorELNS0_4arch9wavefront6targetE0EEEvT1_
		.amdhsa_group_segment_fixed_size 0
		.amdhsa_private_segment_fixed_size 0
		.amdhsa_kernarg_size 96
		.amdhsa_user_sgpr_count 15
		.amdhsa_user_sgpr_dispatch_ptr 0
		.amdhsa_user_sgpr_queue_ptr 0
		.amdhsa_user_sgpr_kernarg_segment_ptr 1
		.amdhsa_user_sgpr_dispatch_id 0
		.amdhsa_user_sgpr_private_segment_size 0
		.amdhsa_wavefront_size32 1
		.amdhsa_uses_dynamic_stack 0
		.amdhsa_enable_private_segment 0
		.amdhsa_system_sgpr_workgroup_id_x 1
		.amdhsa_system_sgpr_workgroup_id_y 0
		.amdhsa_system_sgpr_workgroup_id_z 0
		.amdhsa_system_sgpr_workgroup_info 0
		.amdhsa_system_vgpr_workitem_id 0
		.amdhsa_next_free_vgpr 1
		.amdhsa_next_free_sgpr 1
		.amdhsa_reserve_vcc 0
		.amdhsa_float_round_mode_32 0
		.amdhsa_float_round_mode_16_64 0
		.amdhsa_float_denorm_mode_32 3
		.amdhsa_float_denorm_mode_16_64 3
		.amdhsa_dx10_clamp 1
		.amdhsa_ieee_mode 1
		.amdhsa_fp16_overflow 0
		.amdhsa_workgroup_processor_mode 1
		.amdhsa_memory_ordered 1
		.amdhsa_forward_progress 0
		.amdhsa_shared_vgpr_count 0
		.amdhsa_exception_fp_ieee_invalid_op 0
		.amdhsa_exception_fp_denorm_src 0
		.amdhsa_exception_fp_ieee_div_zero 0
		.amdhsa_exception_fp_ieee_overflow 0
		.amdhsa_exception_fp_ieee_underflow 0
		.amdhsa_exception_fp_ieee_inexact 0
		.amdhsa_exception_int_div_zero 0
	.end_amdhsa_kernel
	.section	.text._ZN7rocprim17ROCPRIM_400000_NS6detail17trampoline_kernelINS0_14default_configENS1_20scan_config_selectorIiEEZZNS1_9scan_implILNS1_25lookback_scan_determinismE0ELb0ELb0ES3_N6thrust23THRUST_200600_302600_NS6detail15normal_iteratorINS9_10device_ptrIiEEEESE_iNS9_4plusIvEEiEEDaPvRmT3_T4_T5_mT6_P12ihipStream_tbENKUlT_T0_E_clISt17integral_constantIbLb1EESU_EEDaSP_SQ_EUlSP_E_NS1_11comp_targetILNS1_3genE2ELNS1_11target_archE906ELNS1_3gpuE6ELNS1_3repE0EEENS1_30default_config_static_selectorELNS0_4arch9wavefront6targetE0EEEvT1_,"axG",@progbits,_ZN7rocprim17ROCPRIM_400000_NS6detail17trampoline_kernelINS0_14default_configENS1_20scan_config_selectorIiEEZZNS1_9scan_implILNS1_25lookback_scan_determinismE0ELb0ELb0ES3_N6thrust23THRUST_200600_302600_NS6detail15normal_iteratorINS9_10device_ptrIiEEEESE_iNS9_4plusIvEEiEEDaPvRmT3_T4_T5_mT6_P12ihipStream_tbENKUlT_T0_E_clISt17integral_constantIbLb1EESU_EEDaSP_SQ_EUlSP_E_NS1_11comp_targetILNS1_3genE2ELNS1_11target_archE906ELNS1_3gpuE6ELNS1_3repE0EEENS1_30default_config_static_selectorELNS0_4arch9wavefront6targetE0EEEvT1_,comdat
.Lfunc_end34:
	.size	_ZN7rocprim17ROCPRIM_400000_NS6detail17trampoline_kernelINS0_14default_configENS1_20scan_config_selectorIiEEZZNS1_9scan_implILNS1_25lookback_scan_determinismE0ELb0ELb0ES3_N6thrust23THRUST_200600_302600_NS6detail15normal_iteratorINS9_10device_ptrIiEEEESE_iNS9_4plusIvEEiEEDaPvRmT3_T4_T5_mT6_P12ihipStream_tbENKUlT_T0_E_clISt17integral_constantIbLb1EESU_EEDaSP_SQ_EUlSP_E_NS1_11comp_targetILNS1_3genE2ELNS1_11target_archE906ELNS1_3gpuE6ELNS1_3repE0EEENS1_30default_config_static_selectorELNS0_4arch9wavefront6targetE0EEEvT1_, .Lfunc_end34-_ZN7rocprim17ROCPRIM_400000_NS6detail17trampoline_kernelINS0_14default_configENS1_20scan_config_selectorIiEEZZNS1_9scan_implILNS1_25lookback_scan_determinismE0ELb0ELb0ES3_N6thrust23THRUST_200600_302600_NS6detail15normal_iteratorINS9_10device_ptrIiEEEESE_iNS9_4plusIvEEiEEDaPvRmT3_T4_T5_mT6_P12ihipStream_tbENKUlT_T0_E_clISt17integral_constantIbLb1EESU_EEDaSP_SQ_EUlSP_E_NS1_11comp_targetILNS1_3genE2ELNS1_11target_archE906ELNS1_3gpuE6ELNS1_3repE0EEENS1_30default_config_static_selectorELNS0_4arch9wavefront6targetE0EEEvT1_
                                        ; -- End function
	.section	.AMDGPU.csdata,"",@progbits
; Kernel info:
; codeLenInByte = 0
; NumSgprs: 0
; NumVgprs: 0
; ScratchSize: 0
; MemoryBound: 0
; FloatMode: 240
; IeeeMode: 1
; LDSByteSize: 0 bytes/workgroup (compile time only)
; SGPRBlocks: 0
; VGPRBlocks: 0
; NumSGPRsForWavesPerEU: 1
; NumVGPRsForWavesPerEU: 1
; Occupancy: 16
; WaveLimiterHint : 0
; COMPUTE_PGM_RSRC2:SCRATCH_EN: 0
; COMPUTE_PGM_RSRC2:USER_SGPR: 15
; COMPUTE_PGM_RSRC2:TRAP_HANDLER: 0
; COMPUTE_PGM_RSRC2:TGID_X_EN: 1
; COMPUTE_PGM_RSRC2:TGID_Y_EN: 0
; COMPUTE_PGM_RSRC2:TGID_Z_EN: 0
; COMPUTE_PGM_RSRC2:TIDIG_COMP_CNT: 0
	.section	.text._ZN7rocprim17ROCPRIM_400000_NS6detail17trampoline_kernelINS0_14default_configENS1_20scan_config_selectorIiEEZZNS1_9scan_implILNS1_25lookback_scan_determinismE0ELb0ELb0ES3_N6thrust23THRUST_200600_302600_NS6detail15normal_iteratorINS9_10device_ptrIiEEEESE_iNS9_4plusIvEEiEEDaPvRmT3_T4_T5_mT6_P12ihipStream_tbENKUlT_T0_E_clISt17integral_constantIbLb1EESU_EEDaSP_SQ_EUlSP_E_NS1_11comp_targetILNS1_3genE10ELNS1_11target_archE1201ELNS1_3gpuE5ELNS1_3repE0EEENS1_30default_config_static_selectorELNS0_4arch9wavefront6targetE0EEEvT1_,"axG",@progbits,_ZN7rocprim17ROCPRIM_400000_NS6detail17trampoline_kernelINS0_14default_configENS1_20scan_config_selectorIiEEZZNS1_9scan_implILNS1_25lookback_scan_determinismE0ELb0ELb0ES3_N6thrust23THRUST_200600_302600_NS6detail15normal_iteratorINS9_10device_ptrIiEEEESE_iNS9_4plusIvEEiEEDaPvRmT3_T4_T5_mT6_P12ihipStream_tbENKUlT_T0_E_clISt17integral_constantIbLb1EESU_EEDaSP_SQ_EUlSP_E_NS1_11comp_targetILNS1_3genE10ELNS1_11target_archE1201ELNS1_3gpuE5ELNS1_3repE0EEENS1_30default_config_static_selectorELNS0_4arch9wavefront6targetE0EEEvT1_,comdat
	.protected	_ZN7rocprim17ROCPRIM_400000_NS6detail17trampoline_kernelINS0_14default_configENS1_20scan_config_selectorIiEEZZNS1_9scan_implILNS1_25lookback_scan_determinismE0ELb0ELb0ES3_N6thrust23THRUST_200600_302600_NS6detail15normal_iteratorINS9_10device_ptrIiEEEESE_iNS9_4plusIvEEiEEDaPvRmT3_T4_T5_mT6_P12ihipStream_tbENKUlT_T0_E_clISt17integral_constantIbLb1EESU_EEDaSP_SQ_EUlSP_E_NS1_11comp_targetILNS1_3genE10ELNS1_11target_archE1201ELNS1_3gpuE5ELNS1_3repE0EEENS1_30default_config_static_selectorELNS0_4arch9wavefront6targetE0EEEvT1_ ; -- Begin function _ZN7rocprim17ROCPRIM_400000_NS6detail17trampoline_kernelINS0_14default_configENS1_20scan_config_selectorIiEEZZNS1_9scan_implILNS1_25lookback_scan_determinismE0ELb0ELb0ES3_N6thrust23THRUST_200600_302600_NS6detail15normal_iteratorINS9_10device_ptrIiEEEESE_iNS9_4plusIvEEiEEDaPvRmT3_T4_T5_mT6_P12ihipStream_tbENKUlT_T0_E_clISt17integral_constantIbLb1EESU_EEDaSP_SQ_EUlSP_E_NS1_11comp_targetILNS1_3genE10ELNS1_11target_archE1201ELNS1_3gpuE5ELNS1_3repE0EEENS1_30default_config_static_selectorELNS0_4arch9wavefront6targetE0EEEvT1_
	.globl	_ZN7rocprim17ROCPRIM_400000_NS6detail17trampoline_kernelINS0_14default_configENS1_20scan_config_selectorIiEEZZNS1_9scan_implILNS1_25lookback_scan_determinismE0ELb0ELb0ES3_N6thrust23THRUST_200600_302600_NS6detail15normal_iteratorINS9_10device_ptrIiEEEESE_iNS9_4plusIvEEiEEDaPvRmT3_T4_T5_mT6_P12ihipStream_tbENKUlT_T0_E_clISt17integral_constantIbLb1EESU_EEDaSP_SQ_EUlSP_E_NS1_11comp_targetILNS1_3genE10ELNS1_11target_archE1201ELNS1_3gpuE5ELNS1_3repE0EEENS1_30default_config_static_selectorELNS0_4arch9wavefront6targetE0EEEvT1_
	.p2align	8
	.type	_ZN7rocprim17ROCPRIM_400000_NS6detail17trampoline_kernelINS0_14default_configENS1_20scan_config_selectorIiEEZZNS1_9scan_implILNS1_25lookback_scan_determinismE0ELb0ELb0ES3_N6thrust23THRUST_200600_302600_NS6detail15normal_iteratorINS9_10device_ptrIiEEEESE_iNS9_4plusIvEEiEEDaPvRmT3_T4_T5_mT6_P12ihipStream_tbENKUlT_T0_E_clISt17integral_constantIbLb1EESU_EEDaSP_SQ_EUlSP_E_NS1_11comp_targetILNS1_3genE10ELNS1_11target_archE1201ELNS1_3gpuE5ELNS1_3repE0EEENS1_30default_config_static_selectorELNS0_4arch9wavefront6targetE0EEEvT1_,@function
_ZN7rocprim17ROCPRIM_400000_NS6detail17trampoline_kernelINS0_14default_configENS1_20scan_config_selectorIiEEZZNS1_9scan_implILNS1_25lookback_scan_determinismE0ELb0ELb0ES3_N6thrust23THRUST_200600_302600_NS6detail15normal_iteratorINS9_10device_ptrIiEEEESE_iNS9_4plusIvEEiEEDaPvRmT3_T4_T5_mT6_P12ihipStream_tbENKUlT_T0_E_clISt17integral_constantIbLb1EESU_EEDaSP_SQ_EUlSP_E_NS1_11comp_targetILNS1_3genE10ELNS1_11target_archE1201ELNS1_3gpuE5ELNS1_3repE0EEENS1_30default_config_static_selectorELNS0_4arch9wavefront6targetE0EEEvT1_: ; @_ZN7rocprim17ROCPRIM_400000_NS6detail17trampoline_kernelINS0_14default_configENS1_20scan_config_selectorIiEEZZNS1_9scan_implILNS1_25lookback_scan_determinismE0ELb0ELb0ES3_N6thrust23THRUST_200600_302600_NS6detail15normal_iteratorINS9_10device_ptrIiEEEESE_iNS9_4plusIvEEiEEDaPvRmT3_T4_T5_mT6_P12ihipStream_tbENKUlT_T0_E_clISt17integral_constantIbLb1EESU_EEDaSP_SQ_EUlSP_E_NS1_11comp_targetILNS1_3genE10ELNS1_11target_archE1201ELNS1_3gpuE5ELNS1_3repE0EEENS1_30default_config_static_selectorELNS0_4arch9wavefront6targetE0EEEvT1_
; %bb.0:
	.section	.rodata,"a",@progbits
	.p2align	6, 0x0
	.amdhsa_kernel _ZN7rocprim17ROCPRIM_400000_NS6detail17trampoline_kernelINS0_14default_configENS1_20scan_config_selectorIiEEZZNS1_9scan_implILNS1_25lookback_scan_determinismE0ELb0ELb0ES3_N6thrust23THRUST_200600_302600_NS6detail15normal_iteratorINS9_10device_ptrIiEEEESE_iNS9_4plusIvEEiEEDaPvRmT3_T4_T5_mT6_P12ihipStream_tbENKUlT_T0_E_clISt17integral_constantIbLb1EESU_EEDaSP_SQ_EUlSP_E_NS1_11comp_targetILNS1_3genE10ELNS1_11target_archE1201ELNS1_3gpuE5ELNS1_3repE0EEENS1_30default_config_static_selectorELNS0_4arch9wavefront6targetE0EEEvT1_
		.amdhsa_group_segment_fixed_size 0
		.amdhsa_private_segment_fixed_size 0
		.amdhsa_kernarg_size 96
		.amdhsa_user_sgpr_count 15
		.amdhsa_user_sgpr_dispatch_ptr 0
		.amdhsa_user_sgpr_queue_ptr 0
		.amdhsa_user_sgpr_kernarg_segment_ptr 1
		.amdhsa_user_sgpr_dispatch_id 0
		.amdhsa_user_sgpr_private_segment_size 0
		.amdhsa_wavefront_size32 1
		.amdhsa_uses_dynamic_stack 0
		.amdhsa_enable_private_segment 0
		.amdhsa_system_sgpr_workgroup_id_x 1
		.amdhsa_system_sgpr_workgroup_id_y 0
		.amdhsa_system_sgpr_workgroup_id_z 0
		.amdhsa_system_sgpr_workgroup_info 0
		.amdhsa_system_vgpr_workitem_id 0
		.amdhsa_next_free_vgpr 1
		.amdhsa_next_free_sgpr 1
		.amdhsa_reserve_vcc 0
		.amdhsa_float_round_mode_32 0
		.amdhsa_float_round_mode_16_64 0
		.amdhsa_float_denorm_mode_32 3
		.amdhsa_float_denorm_mode_16_64 3
		.amdhsa_dx10_clamp 1
		.amdhsa_ieee_mode 1
		.amdhsa_fp16_overflow 0
		.amdhsa_workgroup_processor_mode 1
		.amdhsa_memory_ordered 1
		.amdhsa_forward_progress 0
		.amdhsa_shared_vgpr_count 0
		.amdhsa_exception_fp_ieee_invalid_op 0
		.amdhsa_exception_fp_denorm_src 0
		.amdhsa_exception_fp_ieee_div_zero 0
		.amdhsa_exception_fp_ieee_overflow 0
		.amdhsa_exception_fp_ieee_underflow 0
		.amdhsa_exception_fp_ieee_inexact 0
		.amdhsa_exception_int_div_zero 0
	.end_amdhsa_kernel
	.section	.text._ZN7rocprim17ROCPRIM_400000_NS6detail17trampoline_kernelINS0_14default_configENS1_20scan_config_selectorIiEEZZNS1_9scan_implILNS1_25lookback_scan_determinismE0ELb0ELb0ES3_N6thrust23THRUST_200600_302600_NS6detail15normal_iteratorINS9_10device_ptrIiEEEESE_iNS9_4plusIvEEiEEDaPvRmT3_T4_T5_mT6_P12ihipStream_tbENKUlT_T0_E_clISt17integral_constantIbLb1EESU_EEDaSP_SQ_EUlSP_E_NS1_11comp_targetILNS1_3genE10ELNS1_11target_archE1201ELNS1_3gpuE5ELNS1_3repE0EEENS1_30default_config_static_selectorELNS0_4arch9wavefront6targetE0EEEvT1_,"axG",@progbits,_ZN7rocprim17ROCPRIM_400000_NS6detail17trampoline_kernelINS0_14default_configENS1_20scan_config_selectorIiEEZZNS1_9scan_implILNS1_25lookback_scan_determinismE0ELb0ELb0ES3_N6thrust23THRUST_200600_302600_NS6detail15normal_iteratorINS9_10device_ptrIiEEEESE_iNS9_4plusIvEEiEEDaPvRmT3_T4_T5_mT6_P12ihipStream_tbENKUlT_T0_E_clISt17integral_constantIbLb1EESU_EEDaSP_SQ_EUlSP_E_NS1_11comp_targetILNS1_3genE10ELNS1_11target_archE1201ELNS1_3gpuE5ELNS1_3repE0EEENS1_30default_config_static_selectorELNS0_4arch9wavefront6targetE0EEEvT1_,comdat
.Lfunc_end35:
	.size	_ZN7rocprim17ROCPRIM_400000_NS6detail17trampoline_kernelINS0_14default_configENS1_20scan_config_selectorIiEEZZNS1_9scan_implILNS1_25lookback_scan_determinismE0ELb0ELb0ES3_N6thrust23THRUST_200600_302600_NS6detail15normal_iteratorINS9_10device_ptrIiEEEESE_iNS9_4plusIvEEiEEDaPvRmT3_T4_T5_mT6_P12ihipStream_tbENKUlT_T0_E_clISt17integral_constantIbLb1EESU_EEDaSP_SQ_EUlSP_E_NS1_11comp_targetILNS1_3genE10ELNS1_11target_archE1201ELNS1_3gpuE5ELNS1_3repE0EEENS1_30default_config_static_selectorELNS0_4arch9wavefront6targetE0EEEvT1_, .Lfunc_end35-_ZN7rocprim17ROCPRIM_400000_NS6detail17trampoline_kernelINS0_14default_configENS1_20scan_config_selectorIiEEZZNS1_9scan_implILNS1_25lookback_scan_determinismE0ELb0ELb0ES3_N6thrust23THRUST_200600_302600_NS6detail15normal_iteratorINS9_10device_ptrIiEEEESE_iNS9_4plusIvEEiEEDaPvRmT3_T4_T5_mT6_P12ihipStream_tbENKUlT_T0_E_clISt17integral_constantIbLb1EESU_EEDaSP_SQ_EUlSP_E_NS1_11comp_targetILNS1_3genE10ELNS1_11target_archE1201ELNS1_3gpuE5ELNS1_3repE0EEENS1_30default_config_static_selectorELNS0_4arch9wavefront6targetE0EEEvT1_
                                        ; -- End function
	.section	.AMDGPU.csdata,"",@progbits
; Kernel info:
; codeLenInByte = 0
; NumSgprs: 0
; NumVgprs: 0
; ScratchSize: 0
; MemoryBound: 0
; FloatMode: 240
; IeeeMode: 1
; LDSByteSize: 0 bytes/workgroup (compile time only)
; SGPRBlocks: 0
; VGPRBlocks: 0
; NumSGPRsForWavesPerEU: 1
; NumVGPRsForWavesPerEU: 1
; Occupancy: 16
; WaveLimiterHint : 0
; COMPUTE_PGM_RSRC2:SCRATCH_EN: 0
; COMPUTE_PGM_RSRC2:USER_SGPR: 15
; COMPUTE_PGM_RSRC2:TRAP_HANDLER: 0
; COMPUTE_PGM_RSRC2:TGID_X_EN: 1
; COMPUTE_PGM_RSRC2:TGID_Y_EN: 0
; COMPUTE_PGM_RSRC2:TGID_Z_EN: 0
; COMPUTE_PGM_RSRC2:TIDIG_COMP_CNT: 0
	.section	.text._ZN7rocprim17ROCPRIM_400000_NS6detail17trampoline_kernelINS0_14default_configENS1_20scan_config_selectorIiEEZZNS1_9scan_implILNS1_25lookback_scan_determinismE0ELb0ELb0ES3_N6thrust23THRUST_200600_302600_NS6detail15normal_iteratorINS9_10device_ptrIiEEEESE_iNS9_4plusIvEEiEEDaPvRmT3_T4_T5_mT6_P12ihipStream_tbENKUlT_T0_E_clISt17integral_constantIbLb1EESU_EEDaSP_SQ_EUlSP_E_NS1_11comp_targetILNS1_3genE10ELNS1_11target_archE1200ELNS1_3gpuE4ELNS1_3repE0EEENS1_30default_config_static_selectorELNS0_4arch9wavefront6targetE0EEEvT1_,"axG",@progbits,_ZN7rocprim17ROCPRIM_400000_NS6detail17trampoline_kernelINS0_14default_configENS1_20scan_config_selectorIiEEZZNS1_9scan_implILNS1_25lookback_scan_determinismE0ELb0ELb0ES3_N6thrust23THRUST_200600_302600_NS6detail15normal_iteratorINS9_10device_ptrIiEEEESE_iNS9_4plusIvEEiEEDaPvRmT3_T4_T5_mT6_P12ihipStream_tbENKUlT_T0_E_clISt17integral_constantIbLb1EESU_EEDaSP_SQ_EUlSP_E_NS1_11comp_targetILNS1_3genE10ELNS1_11target_archE1200ELNS1_3gpuE4ELNS1_3repE0EEENS1_30default_config_static_selectorELNS0_4arch9wavefront6targetE0EEEvT1_,comdat
	.protected	_ZN7rocprim17ROCPRIM_400000_NS6detail17trampoline_kernelINS0_14default_configENS1_20scan_config_selectorIiEEZZNS1_9scan_implILNS1_25lookback_scan_determinismE0ELb0ELb0ES3_N6thrust23THRUST_200600_302600_NS6detail15normal_iteratorINS9_10device_ptrIiEEEESE_iNS9_4plusIvEEiEEDaPvRmT3_T4_T5_mT6_P12ihipStream_tbENKUlT_T0_E_clISt17integral_constantIbLb1EESU_EEDaSP_SQ_EUlSP_E_NS1_11comp_targetILNS1_3genE10ELNS1_11target_archE1200ELNS1_3gpuE4ELNS1_3repE0EEENS1_30default_config_static_selectorELNS0_4arch9wavefront6targetE0EEEvT1_ ; -- Begin function _ZN7rocprim17ROCPRIM_400000_NS6detail17trampoline_kernelINS0_14default_configENS1_20scan_config_selectorIiEEZZNS1_9scan_implILNS1_25lookback_scan_determinismE0ELb0ELb0ES3_N6thrust23THRUST_200600_302600_NS6detail15normal_iteratorINS9_10device_ptrIiEEEESE_iNS9_4plusIvEEiEEDaPvRmT3_T4_T5_mT6_P12ihipStream_tbENKUlT_T0_E_clISt17integral_constantIbLb1EESU_EEDaSP_SQ_EUlSP_E_NS1_11comp_targetILNS1_3genE10ELNS1_11target_archE1200ELNS1_3gpuE4ELNS1_3repE0EEENS1_30default_config_static_selectorELNS0_4arch9wavefront6targetE0EEEvT1_
	.globl	_ZN7rocprim17ROCPRIM_400000_NS6detail17trampoline_kernelINS0_14default_configENS1_20scan_config_selectorIiEEZZNS1_9scan_implILNS1_25lookback_scan_determinismE0ELb0ELb0ES3_N6thrust23THRUST_200600_302600_NS6detail15normal_iteratorINS9_10device_ptrIiEEEESE_iNS9_4plusIvEEiEEDaPvRmT3_T4_T5_mT6_P12ihipStream_tbENKUlT_T0_E_clISt17integral_constantIbLb1EESU_EEDaSP_SQ_EUlSP_E_NS1_11comp_targetILNS1_3genE10ELNS1_11target_archE1200ELNS1_3gpuE4ELNS1_3repE0EEENS1_30default_config_static_selectorELNS0_4arch9wavefront6targetE0EEEvT1_
	.p2align	8
	.type	_ZN7rocprim17ROCPRIM_400000_NS6detail17trampoline_kernelINS0_14default_configENS1_20scan_config_selectorIiEEZZNS1_9scan_implILNS1_25lookback_scan_determinismE0ELb0ELb0ES3_N6thrust23THRUST_200600_302600_NS6detail15normal_iteratorINS9_10device_ptrIiEEEESE_iNS9_4plusIvEEiEEDaPvRmT3_T4_T5_mT6_P12ihipStream_tbENKUlT_T0_E_clISt17integral_constantIbLb1EESU_EEDaSP_SQ_EUlSP_E_NS1_11comp_targetILNS1_3genE10ELNS1_11target_archE1200ELNS1_3gpuE4ELNS1_3repE0EEENS1_30default_config_static_selectorELNS0_4arch9wavefront6targetE0EEEvT1_,@function
_ZN7rocprim17ROCPRIM_400000_NS6detail17trampoline_kernelINS0_14default_configENS1_20scan_config_selectorIiEEZZNS1_9scan_implILNS1_25lookback_scan_determinismE0ELb0ELb0ES3_N6thrust23THRUST_200600_302600_NS6detail15normal_iteratorINS9_10device_ptrIiEEEESE_iNS9_4plusIvEEiEEDaPvRmT3_T4_T5_mT6_P12ihipStream_tbENKUlT_T0_E_clISt17integral_constantIbLb1EESU_EEDaSP_SQ_EUlSP_E_NS1_11comp_targetILNS1_3genE10ELNS1_11target_archE1200ELNS1_3gpuE4ELNS1_3repE0EEENS1_30default_config_static_selectorELNS0_4arch9wavefront6targetE0EEEvT1_: ; @_ZN7rocprim17ROCPRIM_400000_NS6detail17trampoline_kernelINS0_14default_configENS1_20scan_config_selectorIiEEZZNS1_9scan_implILNS1_25lookback_scan_determinismE0ELb0ELb0ES3_N6thrust23THRUST_200600_302600_NS6detail15normal_iteratorINS9_10device_ptrIiEEEESE_iNS9_4plusIvEEiEEDaPvRmT3_T4_T5_mT6_P12ihipStream_tbENKUlT_T0_E_clISt17integral_constantIbLb1EESU_EEDaSP_SQ_EUlSP_E_NS1_11comp_targetILNS1_3genE10ELNS1_11target_archE1200ELNS1_3gpuE4ELNS1_3repE0EEENS1_30default_config_static_selectorELNS0_4arch9wavefront6targetE0EEEvT1_
; %bb.0:
	.section	.rodata,"a",@progbits
	.p2align	6, 0x0
	.amdhsa_kernel _ZN7rocprim17ROCPRIM_400000_NS6detail17trampoline_kernelINS0_14default_configENS1_20scan_config_selectorIiEEZZNS1_9scan_implILNS1_25lookback_scan_determinismE0ELb0ELb0ES3_N6thrust23THRUST_200600_302600_NS6detail15normal_iteratorINS9_10device_ptrIiEEEESE_iNS9_4plusIvEEiEEDaPvRmT3_T4_T5_mT6_P12ihipStream_tbENKUlT_T0_E_clISt17integral_constantIbLb1EESU_EEDaSP_SQ_EUlSP_E_NS1_11comp_targetILNS1_3genE10ELNS1_11target_archE1200ELNS1_3gpuE4ELNS1_3repE0EEENS1_30default_config_static_selectorELNS0_4arch9wavefront6targetE0EEEvT1_
		.amdhsa_group_segment_fixed_size 0
		.amdhsa_private_segment_fixed_size 0
		.amdhsa_kernarg_size 96
		.amdhsa_user_sgpr_count 15
		.amdhsa_user_sgpr_dispatch_ptr 0
		.amdhsa_user_sgpr_queue_ptr 0
		.amdhsa_user_sgpr_kernarg_segment_ptr 1
		.amdhsa_user_sgpr_dispatch_id 0
		.amdhsa_user_sgpr_private_segment_size 0
		.amdhsa_wavefront_size32 1
		.amdhsa_uses_dynamic_stack 0
		.amdhsa_enable_private_segment 0
		.amdhsa_system_sgpr_workgroup_id_x 1
		.amdhsa_system_sgpr_workgroup_id_y 0
		.amdhsa_system_sgpr_workgroup_id_z 0
		.amdhsa_system_sgpr_workgroup_info 0
		.amdhsa_system_vgpr_workitem_id 0
		.amdhsa_next_free_vgpr 1
		.amdhsa_next_free_sgpr 1
		.amdhsa_reserve_vcc 0
		.amdhsa_float_round_mode_32 0
		.amdhsa_float_round_mode_16_64 0
		.amdhsa_float_denorm_mode_32 3
		.amdhsa_float_denorm_mode_16_64 3
		.amdhsa_dx10_clamp 1
		.amdhsa_ieee_mode 1
		.amdhsa_fp16_overflow 0
		.amdhsa_workgroup_processor_mode 1
		.amdhsa_memory_ordered 1
		.amdhsa_forward_progress 0
		.amdhsa_shared_vgpr_count 0
		.amdhsa_exception_fp_ieee_invalid_op 0
		.amdhsa_exception_fp_denorm_src 0
		.amdhsa_exception_fp_ieee_div_zero 0
		.amdhsa_exception_fp_ieee_overflow 0
		.amdhsa_exception_fp_ieee_underflow 0
		.amdhsa_exception_fp_ieee_inexact 0
		.amdhsa_exception_int_div_zero 0
	.end_amdhsa_kernel
	.section	.text._ZN7rocprim17ROCPRIM_400000_NS6detail17trampoline_kernelINS0_14default_configENS1_20scan_config_selectorIiEEZZNS1_9scan_implILNS1_25lookback_scan_determinismE0ELb0ELb0ES3_N6thrust23THRUST_200600_302600_NS6detail15normal_iteratorINS9_10device_ptrIiEEEESE_iNS9_4plusIvEEiEEDaPvRmT3_T4_T5_mT6_P12ihipStream_tbENKUlT_T0_E_clISt17integral_constantIbLb1EESU_EEDaSP_SQ_EUlSP_E_NS1_11comp_targetILNS1_3genE10ELNS1_11target_archE1200ELNS1_3gpuE4ELNS1_3repE0EEENS1_30default_config_static_selectorELNS0_4arch9wavefront6targetE0EEEvT1_,"axG",@progbits,_ZN7rocprim17ROCPRIM_400000_NS6detail17trampoline_kernelINS0_14default_configENS1_20scan_config_selectorIiEEZZNS1_9scan_implILNS1_25lookback_scan_determinismE0ELb0ELb0ES3_N6thrust23THRUST_200600_302600_NS6detail15normal_iteratorINS9_10device_ptrIiEEEESE_iNS9_4plusIvEEiEEDaPvRmT3_T4_T5_mT6_P12ihipStream_tbENKUlT_T0_E_clISt17integral_constantIbLb1EESU_EEDaSP_SQ_EUlSP_E_NS1_11comp_targetILNS1_3genE10ELNS1_11target_archE1200ELNS1_3gpuE4ELNS1_3repE0EEENS1_30default_config_static_selectorELNS0_4arch9wavefront6targetE0EEEvT1_,comdat
.Lfunc_end36:
	.size	_ZN7rocprim17ROCPRIM_400000_NS6detail17trampoline_kernelINS0_14default_configENS1_20scan_config_selectorIiEEZZNS1_9scan_implILNS1_25lookback_scan_determinismE0ELb0ELb0ES3_N6thrust23THRUST_200600_302600_NS6detail15normal_iteratorINS9_10device_ptrIiEEEESE_iNS9_4plusIvEEiEEDaPvRmT3_T4_T5_mT6_P12ihipStream_tbENKUlT_T0_E_clISt17integral_constantIbLb1EESU_EEDaSP_SQ_EUlSP_E_NS1_11comp_targetILNS1_3genE10ELNS1_11target_archE1200ELNS1_3gpuE4ELNS1_3repE0EEENS1_30default_config_static_selectorELNS0_4arch9wavefront6targetE0EEEvT1_, .Lfunc_end36-_ZN7rocprim17ROCPRIM_400000_NS6detail17trampoline_kernelINS0_14default_configENS1_20scan_config_selectorIiEEZZNS1_9scan_implILNS1_25lookback_scan_determinismE0ELb0ELb0ES3_N6thrust23THRUST_200600_302600_NS6detail15normal_iteratorINS9_10device_ptrIiEEEESE_iNS9_4plusIvEEiEEDaPvRmT3_T4_T5_mT6_P12ihipStream_tbENKUlT_T0_E_clISt17integral_constantIbLb1EESU_EEDaSP_SQ_EUlSP_E_NS1_11comp_targetILNS1_3genE10ELNS1_11target_archE1200ELNS1_3gpuE4ELNS1_3repE0EEENS1_30default_config_static_selectorELNS0_4arch9wavefront6targetE0EEEvT1_
                                        ; -- End function
	.section	.AMDGPU.csdata,"",@progbits
; Kernel info:
; codeLenInByte = 0
; NumSgprs: 0
; NumVgprs: 0
; ScratchSize: 0
; MemoryBound: 0
; FloatMode: 240
; IeeeMode: 1
; LDSByteSize: 0 bytes/workgroup (compile time only)
; SGPRBlocks: 0
; VGPRBlocks: 0
; NumSGPRsForWavesPerEU: 1
; NumVGPRsForWavesPerEU: 1
; Occupancy: 16
; WaveLimiterHint : 0
; COMPUTE_PGM_RSRC2:SCRATCH_EN: 0
; COMPUTE_PGM_RSRC2:USER_SGPR: 15
; COMPUTE_PGM_RSRC2:TRAP_HANDLER: 0
; COMPUTE_PGM_RSRC2:TGID_X_EN: 1
; COMPUTE_PGM_RSRC2:TGID_Y_EN: 0
; COMPUTE_PGM_RSRC2:TGID_Z_EN: 0
; COMPUTE_PGM_RSRC2:TIDIG_COMP_CNT: 0
	.section	.text._ZN7rocprim17ROCPRIM_400000_NS6detail17trampoline_kernelINS0_14default_configENS1_20scan_config_selectorIiEEZZNS1_9scan_implILNS1_25lookback_scan_determinismE0ELb0ELb0ES3_N6thrust23THRUST_200600_302600_NS6detail15normal_iteratorINS9_10device_ptrIiEEEESE_iNS9_4plusIvEEiEEDaPvRmT3_T4_T5_mT6_P12ihipStream_tbENKUlT_T0_E_clISt17integral_constantIbLb1EESU_EEDaSP_SQ_EUlSP_E_NS1_11comp_targetILNS1_3genE9ELNS1_11target_archE1100ELNS1_3gpuE3ELNS1_3repE0EEENS1_30default_config_static_selectorELNS0_4arch9wavefront6targetE0EEEvT1_,"axG",@progbits,_ZN7rocprim17ROCPRIM_400000_NS6detail17trampoline_kernelINS0_14default_configENS1_20scan_config_selectorIiEEZZNS1_9scan_implILNS1_25lookback_scan_determinismE0ELb0ELb0ES3_N6thrust23THRUST_200600_302600_NS6detail15normal_iteratorINS9_10device_ptrIiEEEESE_iNS9_4plusIvEEiEEDaPvRmT3_T4_T5_mT6_P12ihipStream_tbENKUlT_T0_E_clISt17integral_constantIbLb1EESU_EEDaSP_SQ_EUlSP_E_NS1_11comp_targetILNS1_3genE9ELNS1_11target_archE1100ELNS1_3gpuE3ELNS1_3repE0EEENS1_30default_config_static_selectorELNS0_4arch9wavefront6targetE0EEEvT1_,comdat
	.protected	_ZN7rocprim17ROCPRIM_400000_NS6detail17trampoline_kernelINS0_14default_configENS1_20scan_config_selectorIiEEZZNS1_9scan_implILNS1_25lookback_scan_determinismE0ELb0ELb0ES3_N6thrust23THRUST_200600_302600_NS6detail15normal_iteratorINS9_10device_ptrIiEEEESE_iNS9_4plusIvEEiEEDaPvRmT3_T4_T5_mT6_P12ihipStream_tbENKUlT_T0_E_clISt17integral_constantIbLb1EESU_EEDaSP_SQ_EUlSP_E_NS1_11comp_targetILNS1_3genE9ELNS1_11target_archE1100ELNS1_3gpuE3ELNS1_3repE0EEENS1_30default_config_static_selectorELNS0_4arch9wavefront6targetE0EEEvT1_ ; -- Begin function _ZN7rocprim17ROCPRIM_400000_NS6detail17trampoline_kernelINS0_14default_configENS1_20scan_config_selectorIiEEZZNS1_9scan_implILNS1_25lookback_scan_determinismE0ELb0ELb0ES3_N6thrust23THRUST_200600_302600_NS6detail15normal_iteratorINS9_10device_ptrIiEEEESE_iNS9_4plusIvEEiEEDaPvRmT3_T4_T5_mT6_P12ihipStream_tbENKUlT_T0_E_clISt17integral_constantIbLb1EESU_EEDaSP_SQ_EUlSP_E_NS1_11comp_targetILNS1_3genE9ELNS1_11target_archE1100ELNS1_3gpuE3ELNS1_3repE0EEENS1_30default_config_static_selectorELNS0_4arch9wavefront6targetE0EEEvT1_
	.globl	_ZN7rocprim17ROCPRIM_400000_NS6detail17trampoline_kernelINS0_14default_configENS1_20scan_config_selectorIiEEZZNS1_9scan_implILNS1_25lookback_scan_determinismE0ELb0ELb0ES3_N6thrust23THRUST_200600_302600_NS6detail15normal_iteratorINS9_10device_ptrIiEEEESE_iNS9_4plusIvEEiEEDaPvRmT3_T4_T5_mT6_P12ihipStream_tbENKUlT_T0_E_clISt17integral_constantIbLb1EESU_EEDaSP_SQ_EUlSP_E_NS1_11comp_targetILNS1_3genE9ELNS1_11target_archE1100ELNS1_3gpuE3ELNS1_3repE0EEENS1_30default_config_static_selectorELNS0_4arch9wavefront6targetE0EEEvT1_
	.p2align	8
	.type	_ZN7rocprim17ROCPRIM_400000_NS6detail17trampoline_kernelINS0_14default_configENS1_20scan_config_selectorIiEEZZNS1_9scan_implILNS1_25lookback_scan_determinismE0ELb0ELb0ES3_N6thrust23THRUST_200600_302600_NS6detail15normal_iteratorINS9_10device_ptrIiEEEESE_iNS9_4plusIvEEiEEDaPvRmT3_T4_T5_mT6_P12ihipStream_tbENKUlT_T0_E_clISt17integral_constantIbLb1EESU_EEDaSP_SQ_EUlSP_E_NS1_11comp_targetILNS1_3genE9ELNS1_11target_archE1100ELNS1_3gpuE3ELNS1_3repE0EEENS1_30default_config_static_selectorELNS0_4arch9wavefront6targetE0EEEvT1_,@function
_ZN7rocprim17ROCPRIM_400000_NS6detail17trampoline_kernelINS0_14default_configENS1_20scan_config_selectorIiEEZZNS1_9scan_implILNS1_25lookback_scan_determinismE0ELb0ELb0ES3_N6thrust23THRUST_200600_302600_NS6detail15normal_iteratorINS9_10device_ptrIiEEEESE_iNS9_4plusIvEEiEEDaPvRmT3_T4_T5_mT6_P12ihipStream_tbENKUlT_T0_E_clISt17integral_constantIbLb1EESU_EEDaSP_SQ_EUlSP_E_NS1_11comp_targetILNS1_3genE9ELNS1_11target_archE1100ELNS1_3gpuE3ELNS1_3repE0EEENS1_30default_config_static_selectorELNS0_4arch9wavefront6targetE0EEEvT1_: ; @_ZN7rocprim17ROCPRIM_400000_NS6detail17trampoline_kernelINS0_14default_configENS1_20scan_config_selectorIiEEZZNS1_9scan_implILNS1_25lookback_scan_determinismE0ELb0ELb0ES3_N6thrust23THRUST_200600_302600_NS6detail15normal_iteratorINS9_10device_ptrIiEEEESE_iNS9_4plusIvEEiEEDaPvRmT3_T4_T5_mT6_P12ihipStream_tbENKUlT_T0_E_clISt17integral_constantIbLb1EESU_EEDaSP_SQ_EUlSP_E_NS1_11comp_targetILNS1_3genE9ELNS1_11target_archE1100ELNS1_3gpuE3ELNS1_3repE0EEENS1_30default_config_static_selectorELNS0_4arch9wavefront6targetE0EEEvT1_
; %bb.0:
	s_load_b64 s[20:21], s[0:1], 0x28
	v_cmp_ne_u32_e64 s2, 0, v0
	v_cmp_eq_u32_e64 s3, 0, v0
	s_delay_alu instid0(VALU_DEP_1)
	s_and_saveexec_b32 s4, s3
	s_cbranch_execz .LBB37_4
; %bb.1:
	s_mov_b32 s6, exec_lo
	s_mov_b32 s5, exec_lo
	v_mbcnt_lo_u32_b32 v1, s6, 0
                                        ; implicit-def: $vgpr2
	s_delay_alu instid0(VALU_DEP_1)
	v_cmpx_eq_u32_e32 0, v1
	s_cbranch_execz .LBB37_3
; %bb.2:
	s_load_b64 s[8:9], s[0:1], 0x58
	s_bcnt1_i32_b32 s6, s6
	s_delay_alu instid0(SALU_CYCLE_1)
	v_dual_mov_b32 v2, 0 :: v_dual_mov_b32 v3, s6
	s_waitcnt lgkmcnt(0)
	global_atomic_add_u32 v2, v2, v3, s[8:9] glc
.LBB37_3:
	s_or_b32 exec_lo, exec_lo, s5
	s_waitcnt vmcnt(0)
	v_readfirstlane_b32 s5, v2
	s_delay_alu instid0(VALU_DEP_1)
	v_dual_mov_b32 v2, 0 :: v_dual_add_nc_u32 v1, s5, v1
	ds_store_b32 v2, v1
.LBB37_4:
	s_or_b32 exec_lo, exec_lo, s4
	v_mov_b32_e32 v1, 0
	s_clause 0x2
	s_load_b256 s[12:19], s[0:1], 0x0
	s_load_b32 s22, s[0:1], 0x30
	s_load_b256 s[4:11], s[0:1], 0x38
	s_waitcnt lgkmcnt(0)
	s_barrier
	buffer_gl0_inv
	ds_load_b32 v1, v1
	s_mov_b32 s27, 0
	v_lshlrev_b32_e32 v15, 2, v0
	v_lshrrev_b32_e32 v16, 3, v0
	v_or_b32_e32 v14, 0x100, v0
	v_or_b32_e32 v12, 0x200, v0
	;; [unrolled: 1-line block ×3, first 2 shown]
	s_waitcnt lgkmcnt(0)
	s_barrier
	buffer_gl0_inv
	s_lshl_b64 s[14:15], s[14:15], 2
	s_delay_alu instid0(SALU_CYCLE_1) | instskip(SKIP_2) | instid1(SALU_CYCLE_1)
	s_add_u32 s1, s12, s14
	s_addc_u32 s25, s13, s15
	s_add_i32 s22, s22, -1
	s_lshl_b32 s12, s22, 10
	v_readfirstlane_b32 s24, v1
	v_cmp_ne_u32_e64 s0, s22, v1
	s_delay_alu instid0(VALU_DEP_2) | instskip(SKIP_3) | instid1(SALU_CYCLE_1)
	s_lshl_b32 s26, s24, 10
	s_sub_u32 s22, s18, s12
	s_subb_u32 s23, s19, 0
	s_lshl_b64 s[12:13], s[26:27], 2
	s_add_u32 s18, s1, s12
	s_addc_u32 s19, s25, s13
	s_and_b32 vcc_lo, exec_lo, s0
	s_mov_b32 s25, -1
	s_cbranch_vccz .LBB37_6
; %bb.5:
	v_add_co_u32 v1, s1, s18, v15
	s_delay_alu instid0(VALU_DEP_1)
	v_add_co_ci_u32_e64 v2, null, s19, 0, s1
	v_lshrrev_b32_e32 v6, 3, v12
	v_lshrrev_b32_e32 v7, 3, v13
	v_and_b32_e32 v8, 28, v16
	s_clause 0x3
	flat_load_b32 v3, v[1:2]
	flat_load_b32 v4, v[1:2] offset:1024
	flat_load_b32 v5, v[1:2] offset:2048
	;; [unrolled: 1-line block ×3, first 2 shown]
	v_lshrrev_b32_e32 v2, 3, v14
	v_and_b32_e32 v6, 0x5c, v6
	v_and_b32_e32 v7, 0x7c, v7
	v_add_nc_u32_e32 v8, v8, v15
	s_mov_b32 s25, 0
	v_and_b32_e32 v2, 60, v2
	v_add_nc_u32_e32 v6, v6, v15
	v_add_nc_u32_e32 v7, v7, v15
	s_delay_alu instid0(VALU_DEP_3)
	v_add_nc_u32_e32 v2, v2, v15
	s_waitcnt vmcnt(3) lgkmcnt(3)
	ds_store_b32 v8, v3
	s_waitcnt vmcnt(2) lgkmcnt(3)
	ds_store_b32 v2, v4 offset:1024
	s_waitcnt vmcnt(1) lgkmcnt(3)
	ds_store_b32 v6, v5 offset:2048
	;; [unrolled: 2-line block ×3, first 2 shown]
	s_waitcnt lgkmcnt(0)
	s_barrier
.LBB37_6:
	v_cmp_gt_u32_e64 s1, s22, v0
	s_and_not1_b32 vcc_lo, exec_lo, s25
	s_cbranch_vccnz .LBB37_13
; %bb.7:
	v_dual_mov_b32 v1, s18 :: v_dual_mov_b32 v2, s19
	flat_load_b32 v1, v[1:2]
	s_waitcnt vmcnt(0) lgkmcnt(0)
	v_mov_b32_e32 v3, v1
	v_mov_b32_e32 v2, v1
	;; [unrolled: 1-line block ×3, first 2 shown]
	s_and_saveexec_b32 s25, s1
	s_cbranch_execnz .LBB37_63
; %bb.8:
	s_or_b32 exec_lo, exec_lo, s25
	s_delay_alu instid0(SALU_CYCLE_1)
	s_mov_b32 s1, exec_lo
	v_cmpx_gt_u32_e64 s22, v14
	s_cbranch_execnz .LBB37_64
.LBB37_9:
	s_or_b32 exec_lo, exec_lo, s1
	s_delay_alu instid0(SALU_CYCLE_1)
	s_mov_b32 s1, exec_lo
	v_cmpx_gt_u32_e64 s22, v12
	s_cbranch_execnz .LBB37_65
.LBB37_10:
	s_or_b32 exec_lo, exec_lo, s1
	s_delay_alu instid0(SALU_CYCLE_1)
	s_mov_b32 s1, exec_lo
	v_cmpx_gt_u32_e64 s22, v13
	s_cbranch_execz .LBB37_12
.LBB37_11:
	v_add_co_u32 v5, s18, s18, v15
	s_delay_alu instid0(VALU_DEP_1)
	v_add_co_ci_u32_e64 v6, null, s19, 0, s18
	flat_load_b32 v2, v[5:6] offset:3072
.LBB37_12:
	s_or_b32 exec_lo, exec_lo, s1
	v_lshrrev_b32_e32 v5, 3, v14
	v_lshrrev_b32_e32 v6, 3, v12
	;; [unrolled: 1-line block ×3, first 2 shown]
	v_and_b32_e32 v8, 28, v16
	s_delay_alu instid0(VALU_DEP_4) | instskip(NEXT) | instid1(VALU_DEP_4)
	v_and_b32_e32 v5, 60, v5
	v_and_b32_e32 v6, 0x7c, v6
	s_delay_alu instid0(VALU_DEP_4) | instskip(NEXT) | instid1(VALU_DEP_4)
	v_and_b32_e32 v7, 0x7c, v7
	v_add_nc_u32_e32 v8, v8, v15
	s_delay_alu instid0(VALU_DEP_4) | instskip(NEXT) | instid1(VALU_DEP_4)
	v_add_nc_u32_e32 v5, v5, v15
	v_add_nc_u32_e32 v6, v6, v15
	s_delay_alu instid0(VALU_DEP_4)
	v_add_nc_u32_e32 v7, v7, v15
	s_waitcnt vmcnt(0) lgkmcnt(0)
	ds_store_b32 v8, v4
	ds_store_b32 v5, v1 offset:1024
	ds_store_b32 v6, v3 offset:2048
	;; [unrolled: 1-line block ×3, first 2 shown]
	s_waitcnt lgkmcnt(0)
	s_barrier
.LBB37_13:
	v_add_lshl_u32 v3, v16, v15, 2
	buffer_gl0_inv
	v_lshrrev_b32_e32 v17, 5, v0
	v_cmp_gt_u32_e32 vcc_lo, 32, v0
	s_cmp_lg_u32 s24, 0
	ds_load_2addr_b32 v[1:2], v3 offset1:1
	ds_load_2addr_b32 v[3:4], v3 offset0:2 offset1:3
	s_waitcnt lgkmcnt(0)
	s_barrier
	buffer_gl0_inv
	s_cbranch_scc0 .LBB37_42
; %bb.14:
	v_add_nc_u32_e32 v5, v2, v1
	v_add_lshl_u32 v6, v17, v0, 2
	s_delay_alu instid0(VALU_DEP_2)
	v_add3_u32 v5, v5, v3, v4
	ds_store_b32 v6, v5
	s_waitcnt lgkmcnt(0)
	s_barrier
	buffer_gl0_inv
	s_and_saveexec_b32 s18, vcc_lo
	s_cbranch_execz .LBB37_16
; %bb.15:
	v_and_b32_e32 v6, 0xfc, v0
	s_delay_alu instid0(VALU_DEP_1)
	v_lshl_or_b32 v20, v0, 5, v6
	ds_load_2addr_b32 v[6:7], v20 offset1:1
	ds_load_2addr_b32 v[8:9], v20 offset0:2 offset1:3
	ds_load_2addr_b32 v[10:11], v20 offset0:4 offset1:5
	;; [unrolled: 1-line block ×3, first 2 shown]
	; wave barrier
	s_waitcnt lgkmcnt(3)
	v_add_nc_u32_e32 v7, v7, v6
	s_waitcnt lgkmcnt(2)
	s_delay_alu instid0(VALU_DEP_1) | instskip(SKIP_2) | instid1(VALU_DEP_2)
	v_add3_u32 v7, v7, v8, v9
	v_mbcnt_lo_u32_b32 v8, -1, 0
	s_waitcnt lgkmcnt(1)
	v_add3_u32 v7, v7, v10, v11
	s_delay_alu instid0(VALU_DEP_2) | instskip(SKIP_2) | instid1(VALU_DEP_3)
	v_and_b32_e32 v9, 15, v8
	v_bfe_i32 v11, v8, 4, 1
	s_waitcnt lgkmcnt(0)
	v_add3_u32 v7, v7, v18, v19
	s_delay_alu instid0(VALU_DEP_3) | instskip(NEXT) | instid1(VALU_DEP_2)
	v_cmp_ne_u32_e64 s1, 0, v9
	v_mov_b32_dpp v10, v7 row_shr:1 row_mask:0xf bank_mask:0xf
	s_delay_alu instid0(VALU_DEP_1) | instskip(SKIP_1) | instid1(VALU_DEP_2)
	v_cndmask_b32_e64 v10, 0, v10, s1
	v_cmp_lt_u32_e64 s1, 1, v9
	v_add_nc_u32_e32 v7, v10, v7
	s_delay_alu instid0(VALU_DEP_1) | instskip(NEXT) | instid1(VALU_DEP_1)
	v_mov_b32_dpp v10, v7 row_shr:2 row_mask:0xf bank_mask:0xf
	v_cndmask_b32_e64 v10, 0, v10, s1
	v_cmp_lt_u32_e64 s1, 3, v9
	s_delay_alu instid0(VALU_DEP_2) | instskip(NEXT) | instid1(VALU_DEP_1)
	v_add_nc_u32_e32 v7, v7, v10
	v_mov_b32_dpp v10, v7 row_shr:4 row_mask:0xf bank_mask:0xf
	s_delay_alu instid0(VALU_DEP_1) | instskip(SKIP_1) | instid1(VALU_DEP_2)
	v_cndmask_b32_e64 v10, 0, v10, s1
	v_cmp_lt_u32_e64 s1, 7, v9
	v_add_nc_u32_e32 v7, v7, v10
	s_delay_alu instid0(VALU_DEP_1) | instskip(NEXT) | instid1(VALU_DEP_1)
	v_mov_b32_dpp v10, v7 row_shr:8 row_mask:0xf bank_mask:0xf
	v_cndmask_b32_e64 v9, 0, v10, s1
	v_add_nc_u32_e32 v10, -1, v8
	s_delay_alu instid0(VALU_DEP_2) | instskip(NEXT) | instid1(VALU_DEP_2)
	v_add_nc_u32_e32 v7, v7, v9
	v_cmp_gt_i32_e64 s1, 0, v10
	ds_swizzle_b32 v9, v7 offset:swizzle(BROADCAST,32,15)
	v_cndmask_b32_e64 v8, v10, v8, s1
	s_delay_alu instid0(VALU_DEP_1) | instskip(SKIP_2) | instid1(VALU_DEP_1)
	v_lshlrev_b32_e32 v8, 2, v8
	s_waitcnt lgkmcnt(0)
	v_and_b32_e32 v9, v11, v9
	v_add_nc_u32_e32 v7, v7, v9
	ds_bpermute_b32 v7, v8, v7
	s_waitcnt lgkmcnt(0)
	v_add_nc_u32_e32 v6, v7, v6
	s_delay_alu instid0(VALU_DEP_1)
	v_cndmask_b32_e64 v11, v6, v5, s3
	ds_store_b32 v20, v11
	; wave barrier
	ds_load_2addr_b32 v[5:6], v20 offset0:1 offset1:2
	ds_load_2addr_b32 v[7:8], v20 offset0:3 offset1:4
	;; [unrolled: 1-line block ×3, first 2 shown]
	ds_load_b32 v18, v20 offset:28
	s_waitcnt lgkmcnt(3)
	v_add_nc_u32_e32 v5, v5, v11
	s_delay_alu instid0(VALU_DEP_1) | instskip(SKIP_1) | instid1(VALU_DEP_1)
	v_add_nc_u32_e32 v6, v6, v5
	s_waitcnt lgkmcnt(2)
	v_add_nc_u32_e32 v7, v7, v6
	s_delay_alu instid0(VALU_DEP_1) | instskip(SKIP_1) | instid1(VALU_DEP_1)
	v_add_nc_u32_e32 v8, v8, v7
	;; [unrolled: 4-line block ×3, first 2 shown]
	s_waitcnt lgkmcnt(0)
	v_add_nc_u32_e32 v11, v18, v10
	ds_store_2addr_b32 v20, v5, v6 offset0:1 offset1:2
	ds_store_2addr_b32 v20, v7, v8 offset0:3 offset1:4
	;; [unrolled: 1-line block ×3, first 2 shown]
	ds_store_b32 v20, v11 offset:28
.LBB37_16:
	s_or_b32 exec_lo, exec_lo, s18
	v_mov_b32_e32 v18, 0
	s_waitcnt lgkmcnt(0)
	s_barrier
	buffer_gl0_inv
	s_and_saveexec_b32 s1, s2
	s_cbranch_execz .LBB37_18
; %bb.17:
	v_add_nc_u32_e32 v5, -1, v0
	s_delay_alu instid0(VALU_DEP_1) | instskip(NEXT) | instid1(VALU_DEP_1)
	v_lshrrev_b32_e32 v6, 5, v5
	v_add_lshl_u32 v5, v6, v5, 2
	ds_load_b32 v18, v5
.LBB37_18:
	s_or_b32 exec_lo, exec_lo, s1
	s_and_saveexec_b32 s25, vcc_lo
	s_cbranch_execz .LBB37_41
; %bb.19:
	v_mov_b32_e32 v8, 0
	v_mbcnt_lo_u32_b32 v19, -1, 0
	s_mov_b32 s19, 0
	ds_load_b32 v5, v8 offset:1048
	v_cmp_eq_u32_e64 s1, 0, v19
	s_delay_alu instid0(VALU_DEP_1)
	s_and_saveexec_b32 s26, s1
	s_cbranch_execz .LBB37_21
; %bb.20:
	s_add_i32 s18, s24, 32
	v_mov_b32_e32 v6, 1
	s_lshl_b64 s[18:19], s[18:19], 3
	s_delay_alu instid0(SALU_CYCLE_1)
	s_add_u32 s18, s20, s18
	s_addc_u32 s19, s21, s19
	s_waitcnt lgkmcnt(0)
	global_store_b64 v8, v[5:6], s[18:19]
.LBB37_21:
	s_or_b32 exec_lo, exec_lo, s26
	v_xad_u32 v6, v19, -1, s24
	s_mov_b32 s18, exec_lo
	s_delay_alu instid0(VALU_DEP_1) | instskip(NEXT) | instid1(VALU_DEP_1)
	v_add_nc_u32_e32 v7, 32, v6
	v_lshlrev_b64 v[7:8], 3, v[7:8]
	s_delay_alu instid0(VALU_DEP_1) | instskip(NEXT) | instid1(VALU_DEP_2)
	v_add_co_u32 v10, vcc_lo, s20, v7
	v_add_co_ci_u32_e32 v11, vcc_lo, s21, v8, vcc_lo
	global_load_b64 v[8:9], v[10:11], off glc
	s_waitcnt vmcnt(0)
	v_and_b32_e32 v7, 0xff, v9
	s_delay_alu instid0(VALU_DEP_1)
	v_cmpx_eq_u16_e32 0, v7
	s_cbranch_execz .LBB37_27
; %bb.22:
	s_mov_b32 s26, 1
	s_mov_b32 s19, 0
	.p2align	6
.LBB37_23:                              ; =>This Loop Header: Depth=1
                                        ;     Child Loop BB37_24 Depth 2
	s_max_u32 s27, s26, 1
.LBB37_24:                              ;   Parent Loop BB37_23 Depth=1
                                        ; =>  This Inner Loop Header: Depth=2
	s_delay_alu instid0(SALU_CYCLE_1)
	s_add_i32 s27, s27, -1
	s_sleep 1
	s_cmp_eq_u32 s27, 0
	s_cbranch_scc0 .LBB37_24
; %bb.25:                               ;   in Loop: Header=BB37_23 Depth=1
	global_load_b64 v[8:9], v[10:11], off glc
	s_cmp_lt_u32 s26, 32
	s_cselect_b32 s27, -1, 0
	s_delay_alu instid0(SALU_CYCLE_1) | instskip(SKIP_3) | instid1(VALU_DEP_1)
	s_cmp_lg_u32 s27, 0
	s_addc_u32 s26, s26, 0
	s_waitcnt vmcnt(0)
	v_and_b32_e32 v7, 0xff, v9
	v_cmp_ne_u16_e32 vcc_lo, 0, v7
	s_or_b32 s19, vcc_lo, s19
	s_delay_alu instid0(SALU_CYCLE_1)
	s_and_not1_b32 exec_lo, exec_lo, s19
	s_cbranch_execnz .LBB37_23
; %bb.26:
	s_or_b32 exec_lo, exec_lo, s19
.LBB37_27:
	s_delay_alu instid0(SALU_CYCLE_1)
	s_or_b32 exec_lo, exec_lo, s18
	v_cmp_ne_u32_e32 vcc_lo, 31, v19
	v_lshlrev_b32_e64 v21, v19, -1
	v_add_nc_u32_e32 v23, 2, v19
	v_add_nc_u32_e32 v25, 4, v19
	;; [unrolled: 1-line block ×3, first 2 shown]
	v_add_co_ci_u32_e32 v7, vcc_lo, 0, v19, vcc_lo
	v_add_nc_u32_e32 v30, 16, v19
	s_delay_alu instid0(VALU_DEP_2) | instskip(SKIP_2) | instid1(VALU_DEP_1)
	v_lshlrev_b32_e32 v20, 2, v7
	ds_bpermute_b32 v10, v20, v8
	v_and_b32_e32 v7, 0xff, v9
	v_cmp_eq_u16_e32 vcc_lo, 2, v7
	v_and_or_b32 v7, vcc_lo, v21, 0x80000000
	v_cmp_gt_u32_e32 vcc_lo, 30, v19
	s_delay_alu instid0(VALU_DEP_2) | instskip(SKIP_1) | instid1(VALU_DEP_2)
	v_ctz_i32_b32_e32 v7, v7
	v_cndmask_b32_e64 v11, 0, 1, vcc_lo
	v_cmp_lt_u32_e32 vcc_lo, v19, v7
	s_waitcnt lgkmcnt(0)
	s_delay_alu instid0(VALU_DEP_2) | instskip(NEXT) | instid1(VALU_DEP_1)
	v_dual_cndmask_b32 v10, 0, v10 :: v_dual_lshlrev_b32 v11, 1, v11
	v_add_lshl_u32 v22, v11, v19, 2
	v_cmp_gt_u32_e32 vcc_lo, 28, v19
	s_delay_alu instid0(VALU_DEP_3) | instskip(SKIP_4) | instid1(VALU_DEP_1)
	v_add_nc_u32_e32 v8, v10, v8
	v_cndmask_b32_e64 v11, 0, 1, vcc_lo
	v_cmp_le_u32_e32 vcc_lo, v23, v7
	ds_bpermute_b32 v10, v22, v8
	v_lshlrev_b32_e32 v11, 2, v11
	v_add_lshl_u32 v24, v11, v19, 2
	s_waitcnt lgkmcnt(0)
	v_cndmask_b32_e32 v10, 0, v10, vcc_lo
	v_cmp_gt_u32_e32 vcc_lo, 24, v19
	s_delay_alu instid0(VALU_DEP_2) | instskip(SKIP_4) | instid1(VALU_DEP_1)
	v_add_nc_u32_e32 v8, v8, v10
	v_cndmask_b32_e64 v11, 0, 1, vcc_lo
	v_cmp_le_u32_e32 vcc_lo, v25, v7
	ds_bpermute_b32 v10, v24, v8
	v_lshlrev_b32_e32 v11, 3, v11
	v_add_lshl_u32 v27, v11, v19, 2
	s_waitcnt lgkmcnt(0)
	v_cndmask_b32_e32 v10, 0, v10, vcc_lo
	v_cmp_gt_u32_e32 vcc_lo, 16, v19
	s_delay_alu instid0(VALU_DEP_2) | instskip(SKIP_4) | instid1(VALU_DEP_1)
	v_add_nc_u32_e32 v8, v8, v10
	v_cndmask_b32_e64 v11, 0, 1, vcc_lo
	v_cmp_le_u32_e32 vcc_lo, v28, v7
	ds_bpermute_b32 v10, v27, v8
	v_lshlrev_b32_e32 v11, 4, v11
	v_add_lshl_u32 v29, v11, v19, 2
	s_waitcnt lgkmcnt(0)
	v_cndmask_b32_e32 v10, 0, v10, vcc_lo
	v_cmp_le_u32_e32 vcc_lo, v30, v7
	s_delay_alu instid0(VALU_DEP_2) | instskip(SKIP_3) | instid1(VALU_DEP_1)
	v_add_nc_u32_e32 v8, v8, v10
	ds_bpermute_b32 v10, v29, v8
	s_waitcnt lgkmcnt(0)
	v_cndmask_b32_e32 v7, 0, v10, vcc_lo
	v_dual_mov_b32 v7, 0 :: v_dual_add_nc_u32 v8, v8, v7
	s_branch .LBB37_29
.LBB37_28:                              ;   in Loop: Header=BB37_29 Depth=1
	s_or_b32 exec_lo, exec_lo, s18
	ds_bpermute_b32 v11, v20, v8
	v_and_b32_e32 v10, 0xff, v9
	v_subrev_nc_u32_e32 v6, 32, v6
	s_delay_alu instid0(VALU_DEP_2) | instskip(SKIP_1) | instid1(VALU_DEP_1)
	v_cmp_eq_u16_e32 vcc_lo, 2, v10
	v_and_or_b32 v10, vcc_lo, v21, 0x80000000
	v_ctz_i32_b32_e32 v10, v10
	s_delay_alu instid0(VALU_DEP_1) | instskip(SKIP_3) | instid1(VALU_DEP_2)
	v_cmp_lt_u32_e32 vcc_lo, v19, v10
	s_waitcnt lgkmcnt(0)
	v_cndmask_b32_e32 v11, 0, v11, vcc_lo
	v_cmp_le_u32_e32 vcc_lo, v23, v10
	v_add_nc_u32_e32 v8, v11, v8
	ds_bpermute_b32 v11, v22, v8
	s_waitcnt lgkmcnt(0)
	v_cndmask_b32_e32 v11, 0, v11, vcc_lo
	v_cmp_le_u32_e32 vcc_lo, v25, v10
	s_delay_alu instid0(VALU_DEP_2) | instskip(SKIP_4) | instid1(VALU_DEP_2)
	v_add_nc_u32_e32 v8, v8, v11
	ds_bpermute_b32 v11, v24, v8
	s_waitcnt lgkmcnt(0)
	v_cndmask_b32_e32 v11, 0, v11, vcc_lo
	v_cmp_le_u32_e32 vcc_lo, v28, v10
	v_add_nc_u32_e32 v8, v8, v11
	ds_bpermute_b32 v11, v27, v8
	s_waitcnt lgkmcnt(0)
	v_cndmask_b32_e32 v11, 0, v11, vcc_lo
	v_cmp_le_u32_e32 vcc_lo, v30, v10
	s_delay_alu instid0(VALU_DEP_2) | instskip(SKIP_3) | instid1(VALU_DEP_1)
	v_add_nc_u32_e32 v8, v8, v11
	ds_bpermute_b32 v11, v29, v8
	s_waitcnt lgkmcnt(0)
	v_cndmask_b32_e32 v10, 0, v11, vcc_lo
	v_add3_u32 v8, v10, v26, v8
.LBB37_29:                              ; =>This Loop Header: Depth=1
                                        ;     Child Loop BB37_32 Depth 2
                                        ;       Child Loop BB37_33 Depth 3
	s_delay_alu instid0(VALU_DEP_1) | instskip(NEXT) | instid1(VALU_DEP_1)
	v_dual_mov_b32 v26, v8 :: v_dual_and_b32 v9, 0xff, v9
	v_cmp_ne_u16_e32 vcc_lo, 2, v9
	v_cndmask_b32_e64 v9, 0, 1, vcc_lo
	;;#ASMSTART
	;;#ASMEND
	s_delay_alu instid0(VALU_DEP_1)
	v_cmp_ne_u32_e32 vcc_lo, 0, v9
	s_cmp_lg_u32 vcc_lo, exec_lo
	s_cbranch_scc1 .LBB37_36
; %bb.30:                               ;   in Loop: Header=BB37_29 Depth=1
	v_lshlrev_b64 v[8:9], 3, v[6:7]
	s_mov_b32 s18, exec_lo
	s_delay_alu instid0(VALU_DEP_1) | instskip(NEXT) | instid1(VALU_DEP_2)
	v_add_co_u32 v10, vcc_lo, s20, v8
	v_add_co_ci_u32_e32 v11, vcc_lo, s21, v9, vcc_lo
	global_load_b64 v[8:9], v[10:11], off glc
	s_waitcnt vmcnt(0)
	v_and_b32_e32 v31, 0xff, v9
	s_delay_alu instid0(VALU_DEP_1)
	v_cmpx_eq_u16_e32 0, v31
	s_cbranch_execz .LBB37_28
; %bb.31:                               ;   in Loop: Header=BB37_29 Depth=1
	s_mov_b32 s26, 1
	s_mov_b32 s19, 0
	.p2align	6
.LBB37_32:                              ;   Parent Loop BB37_29 Depth=1
                                        ; =>  This Loop Header: Depth=2
                                        ;       Child Loop BB37_33 Depth 3
	s_max_u32 s27, s26, 1
.LBB37_33:                              ;   Parent Loop BB37_29 Depth=1
                                        ;     Parent Loop BB37_32 Depth=2
                                        ; =>    This Inner Loop Header: Depth=3
	s_delay_alu instid0(SALU_CYCLE_1)
	s_add_i32 s27, s27, -1
	s_sleep 1
	s_cmp_eq_u32 s27, 0
	s_cbranch_scc0 .LBB37_33
; %bb.34:                               ;   in Loop: Header=BB37_32 Depth=2
	global_load_b64 v[8:9], v[10:11], off glc
	s_cmp_lt_u32 s26, 32
	s_cselect_b32 s27, -1, 0
	s_delay_alu instid0(SALU_CYCLE_1) | instskip(SKIP_3) | instid1(VALU_DEP_1)
	s_cmp_lg_u32 s27, 0
	s_addc_u32 s26, s26, 0
	s_waitcnt vmcnt(0)
	v_and_b32_e32 v31, 0xff, v9
	v_cmp_ne_u16_e32 vcc_lo, 0, v31
	s_or_b32 s19, vcc_lo, s19
	s_delay_alu instid0(SALU_CYCLE_1)
	s_and_not1_b32 exec_lo, exec_lo, s19
	s_cbranch_execnz .LBB37_32
; %bb.35:                               ;   in Loop: Header=BB37_29 Depth=1
	s_or_b32 exec_lo, exec_lo, s19
	s_branch .LBB37_28
.LBB37_36:                              ;   in Loop: Header=BB37_29 Depth=1
                                        ; implicit-def: $vgpr8
                                        ; implicit-def: $vgpr9
	s_cbranch_execz .LBB37_29
; %bb.37:
	s_and_saveexec_b32 s18, s1
	s_cbranch_execz .LBB37_39
; %bb.38:
	s_add_i32 s26, s24, 32
	s_mov_b32 s27, 0
	v_dual_mov_b32 v6, 2 :: v_dual_add_nc_u32 v5, v26, v5
	s_lshl_b64 s[26:27], s[26:27], 3
	v_mov_b32_e32 v7, 0
	s_add_u32 s26, s20, s26
	s_addc_u32 s27, s21, s27
	global_store_b64 v7, v[5:6], s[26:27]
.LBB37_39:
	s_or_b32 exec_lo, exec_lo, s18
	s_delay_alu instid0(SALU_CYCLE_1)
	s_and_b32 exec_lo, exec_lo, s3
	s_cbranch_execz .LBB37_41
; %bb.40:
	v_mov_b32_e32 v5, 0
	ds_store_b32 v5, v26
.LBB37_41:
	s_or_b32 exec_lo, exec_lo, s25
	v_mov_b32_e32 v5, 0
	s_waitcnt lgkmcnt(0)
	s_waitcnt_vscnt null, 0x0
	s_barrier
	buffer_gl0_inv
	ds_load_b32 v5, v5
	s_waitcnt lgkmcnt(0)
	v_add3_u32 v6, v18, v1, v5
	s_delay_alu instid0(VALU_DEP_1) | instskip(NEXT) | instid1(VALU_DEP_1)
	v_add_nc_u32_e32 v7, v6, v2
	v_add_nc_u32_e32 v8, v7, v3
	s_delay_alu instid0(VALU_DEP_1)
	v_add_nc_u32_e32 v5, v8, v4
	s_branch .LBB37_54
.LBB37_42:
                                        ; implicit-def: $vgpr5
                                        ; implicit-def: $vgpr8
                                        ; implicit-def: $vgpr7
                                        ; implicit-def: $vgpr6
	s_cbranch_execz .LBB37_54
; %bb.43:
	s_cmp_lg_u64 s[8:9], 0
	s_cselect_b32 s1, -1, 0
	s_delay_alu instid0(SALU_CYCLE_1) | instskip(NEXT) | instid1(SALU_CYCLE_1)
	s_and_b32 s8, s3, s1
	s_and_saveexec_b32 s1, s8
	s_cbranch_execz .LBB37_45
; %bb.44:
	v_mov_b32_e32 v5, 0
	global_load_b32 v5, v5, s[4:5]
	s_waitcnt vmcnt(0)
	v_add_nc_u32_e32 v1, v5, v1
.LBB37_45:
	s_or_b32 exec_lo, exec_lo, s1
	s_delay_alu instid0(VALU_DEP_1) | instskip(SKIP_2) | instid1(VALU_DEP_2)
	v_add_nc_u32_e32 v7, v2, v1
	v_add_lshl_u32 v6, v17, v0, 2
	s_mov_b32 s1, exec_lo
	v_add_nc_u32_e32 v8, v7, v3
	s_delay_alu instid0(VALU_DEP_1)
	v_add_nc_u32_e32 v5, v8, v4
	ds_store_b32 v6, v5
	s_waitcnt lgkmcnt(0)
	s_barrier
	buffer_gl0_inv
	v_cmpx_gt_u32_e32 32, v0
	s_cbranch_execz .LBB37_47
; %bb.46:
	v_and_b32_e32 v6, 0xfc, v0
	v_mbcnt_lo_u32_b32 v11, -1, 0
	s_delay_alu instid0(VALU_DEP_2)
	v_lshl_or_b32 v6, v0, 5, v6
	ds_load_2addr_b32 v[9:10], v6 offset1:1
	ds_load_2addr_b32 v[18:19], v6 offset0:2 offset1:3
	ds_load_2addr_b32 v[20:21], v6 offset0:4 offset1:5
	;; [unrolled: 1-line block ×3, first 2 shown]
	; wave barrier
	s_waitcnt lgkmcnt(3)
	v_add_nc_u32_e32 v10, v10, v9
	s_waitcnt lgkmcnt(2)
	s_delay_alu instid0(VALU_DEP_1) | instskip(SKIP_2) | instid1(VALU_DEP_2)
	v_add3_u32 v10, v10, v18, v19
	v_and_b32_e32 v18, 15, v11
	s_waitcnt lgkmcnt(1)
	v_add3_u32 v10, v10, v20, v21
	s_delay_alu instid0(VALU_DEP_2) | instskip(SKIP_2) | instid1(VALU_DEP_3)
	v_cmp_ne_u32_e32 vcc_lo, 0, v18
	v_bfe_i32 v20, v11, 4, 1
	s_waitcnt lgkmcnt(0)
	v_add3_u32 v10, v10, v22, v23
	s_delay_alu instid0(VALU_DEP_1) | instskip(NEXT) | instid1(VALU_DEP_1)
	v_mov_b32_dpp v19, v10 row_shr:1 row_mask:0xf bank_mask:0xf
	v_cndmask_b32_e32 v19, 0, v19, vcc_lo
	v_cmp_lt_u32_e32 vcc_lo, 1, v18
	s_delay_alu instid0(VALU_DEP_2) | instskip(NEXT) | instid1(VALU_DEP_1)
	v_add_nc_u32_e32 v10, v19, v10
	v_mov_b32_dpp v19, v10 row_shr:2 row_mask:0xf bank_mask:0xf
	s_delay_alu instid0(VALU_DEP_1) | instskip(SKIP_1) | instid1(VALU_DEP_2)
	v_cndmask_b32_e32 v19, 0, v19, vcc_lo
	v_cmp_lt_u32_e32 vcc_lo, 3, v18
	v_add_nc_u32_e32 v10, v10, v19
	s_delay_alu instid0(VALU_DEP_1) | instskip(NEXT) | instid1(VALU_DEP_1)
	v_mov_b32_dpp v19, v10 row_shr:4 row_mask:0xf bank_mask:0xf
	v_cndmask_b32_e32 v19, 0, v19, vcc_lo
	v_cmp_lt_u32_e32 vcc_lo, 7, v18
	s_delay_alu instid0(VALU_DEP_2) | instskip(NEXT) | instid1(VALU_DEP_1)
	v_add_nc_u32_e32 v10, v10, v19
	v_mov_b32_dpp v19, v10 row_shr:8 row_mask:0xf bank_mask:0xf
	s_delay_alu instid0(VALU_DEP_1) | instskip(SKIP_1) | instid1(VALU_DEP_1)
	v_cndmask_b32_e32 v18, 0, v19, vcc_lo
	v_add_nc_u32_e32 v19, -1, v11
	v_cmp_gt_i32_e32 vcc_lo, 0, v19
	s_delay_alu instid0(VALU_DEP_3) | instskip(SKIP_4) | instid1(VALU_DEP_1)
	v_dual_cndmask_b32 v11, v19, v11 :: v_dual_add_nc_u32 v10, v10, v18
	ds_swizzle_b32 v18, v10 offset:swizzle(BROADCAST,32,15)
	v_lshlrev_b32_e32 v11, 2, v11
	s_waitcnt lgkmcnt(0)
	v_and_b32_e32 v18, v20, v18
	v_add_nc_u32_e32 v10, v10, v18
	ds_bpermute_b32 v10, v11, v10
	s_waitcnt lgkmcnt(0)
	v_add_nc_u32_e32 v9, v10, v9
	s_delay_alu instid0(VALU_DEP_1)
	v_cndmask_b32_e64 v11, v9, v5, s3
	ds_store_b32 v6, v11
	; wave barrier
	ds_load_2addr_b32 v[9:10], v6 offset0:1 offset1:2
	ds_load_2addr_b32 v[18:19], v6 offset0:3 offset1:4
	;; [unrolled: 1-line block ×3, first 2 shown]
	ds_load_b32 v22, v6 offset:28
	s_waitcnt lgkmcnt(3)
	v_add_nc_u32_e32 v9, v9, v11
	s_delay_alu instid0(VALU_DEP_1) | instskip(SKIP_1) | instid1(VALU_DEP_1)
	v_add_nc_u32_e32 v10, v10, v9
	s_waitcnt lgkmcnt(2)
	v_add_nc_u32_e32 v11, v18, v10
	s_delay_alu instid0(VALU_DEP_1) | instskip(SKIP_1) | instid1(VALU_DEP_1)
	v_add_nc_u32_e32 v18, v19, v11
	;; [unrolled: 4-line block ×3, first 2 shown]
	s_waitcnt lgkmcnt(0)
	v_add_nc_u32_e32 v21, v22, v20
	ds_store_2addr_b32 v6, v9, v10 offset0:1 offset1:2
	ds_store_2addr_b32 v6, v11, v18 offset0:3 offset1:4
	;; [unrolled: 1-line block ×3, first 2 shown]
	ds_store_b32 v6, v21 offset:28
.LBB37_47:
	s_or_b32 exec_lo, exec_lo, s1
	v_mov_b32_e32 v6, v5
	s_waitcnt lgkmcnt(0)
	s_barrier
	buffer_gl0_inv
	s_and_saveexec_b32 s1, s2
	s_cbranch_execz .LBB37_49
; %bb.48:
	v_add_nc_u32_e32 v6, -1, v0
	s_delay_alu instid0(VALU_DEP_1) | instskip(NEXT) | instid1(VALU_DEP_1)
	v_lshrrev_b32_e32 v9, 5, v6
	v_add_lshl_u32 v6, v9, v6, 2
	ds_load_b32 v6, v6
.LBB37_49:
	s_or_b32 exec_lo, exec_lo, s1
	s_and_saveexec_b32 s1, s2
	s_cbranch_execz .LBB37_51
; %bb.50:
	s_waitcnt lgkmcnt(0)
	v_add_nc_u32_e32 v1, v6, v1
	;;#ASMSTART
	;;#ASMEND
	s_delay_alu instid0(VALU_DEP_1) | instskip(NEXT) | instid1(VALU_DEP_1)
	v_add_nc_u32_e32 v7, v1, v2
	v_add_nc_u32_e32 v8, v7, v3
	s_delay_alu instid0(VALU_DEP_1)
	v_add_nc_u32_e32 v5, v8, v4
.LBB37_51:
	s_or_b32 exec_lo, exec_lo, s1
	s_delay_alu instid0(SALU_CYCLE_1)
	s_mov_b32 s1, exec_lo
	v_cmpx_eq_u32_e32 0xff, v0
	s_cbranch_execz .LBB37_53
; %bb.52:
	v_mov_b32_e32 v2, 0
	s_waitcnt lgkmcnt(0)
	v_mov_b32_e32 v6, 2
	global_store_b64 v2, v[5:6], s[20:21] offset:256
.LBB37_53:
	s_or_b32 exec_lo, exec_lo, s1
	s_waitcnt lgkmcnt(0)
	v_mov_b32_e32 v6, v1
.LBB37_54:
	s_add_u32 s1, s16, s14
	v_lshlrev_b32_e32 v1, 4, v0
	s_addc_u32 s2, s17, s15
	s_add_u32 s1, s1, s12
	s_addc_u32 s2, s2, s13
	s_and_b32 vcc_lo, exec_lo, s0
	s_mov_b32 s0, -1
	s_waitcnt_vscnt null, 0x0
	s_barrier
	buffer_gl0_inv
	s_cbranch_vccz .LBB37_56
; %bb.55:
	v_lshl_add_u32 v2, v16, 2, v1
	v_lshrrev_b32_e32 v3, 5, v14
	v_lshrrev_b32_e32 v4, 5, v12
	v_add_lshl_u32 v9, v17, v0, 2
	ds_store_2addr_b32 v2, v6, v7 offset1:1
	ds_store_2addr_b32 v2, v8, v5 offset0:2 offset1:3
	v_lshrrev_b32_e32 v2, 5, v13
	v_add_lshl_u32 v3, v3, v0, 2
	v_add_lshl_u32 v4, v4, v0, 2
	s_waitcnt lgkmcnt(0)
	s_barrier
	v_add_lshl_u32 v2, v2, v0, 2
	buffer_gl0_inv
	ds_load_b32 v9, v9
	ds_load_b32 v10, v3 offset:1024
	ds_load_b32 v4, v4 offset:2048
	;; [unrolled: 1-line block ×3, first 2 shown]
	v_add_co_u32 v2, s0, s1, v15
	s_delay_alu instid0(VALU_DEP_1)
	v_add_co_ci_u32_e64 v3, null, s2, 0, s0
	s_mov_b32 s0, 0
	s_waitcnt lgkmcnt(3)
	flat_store_b32 v[2:3], v9
	s_waitcnt lgkmcnt(3)
	flat_store_b32 v[2:3], v10 offset:1024
	s_waitcnt lgkmcnt(3)
	flat_store_b32 v[2:3], v4 offset:2048
	;; [unrolled: 2-line block ×3, first 2 shown]
.LBB37_56:
	s_and_not1_b32 vcc_lo, exec_lo, s0
	s_cbranch_vccnz .LBB37_62
; %bb.57:
	v_lshl_add_u32 v1, v16, 2, v1
	v_lshrrev_b32_e32 v2, 5, v14
	v_lshrrev_b32_e32 v3, 5, v12
	v_add_lshl_u32 v4, v17, v0, 2
	ds_store_2addr_b32 v1, v6, v7 offset1:1
	ds_store_2addr_b32 v1, v8, v5 offset0:2 offset1:3
	v_lshrrev_b32_e32 v1, 5, v13
	v_add_lshl_u32 v2, v2, v0, 2
	v_add_lshl_u32 v3, v3, v0, 2
	s_waitcnt lgkmcnt(0)
	s_waitcnt_vscnt null, 0x0
	s_barrier
	v_add_lshl_u32 v1, v1, v0, 2
	buffer_gl0_inv
	ds_load_b32 v5, v4
	ds_load_b32 v4, v2 offset:1024
	ds_load_b32 v6, v3 offset:2048
	;; [unrolled: 1-line block ×3, first 2 shown]
	v_add_co_u32 v2, s0, s1, v15
	v_mov_b32_e32 v1, 0
	v_add_co_ci_u32_e64 v3, null, s2, 0, s0
	s_mov_b32 s0, exec_lo
	v_cmpx_gt_u32_e64 s22, v0
	s_cbranch_execnz .LBB37_66
; %bb.58:
	s_or_b32 exec_lo, exec_lo, s0
	s_delay_alu instid0(SALU_CYCLE_1)
	s_mov_b32 s0, exec_lo
	v_cmpx_gt_u32_e64 s22, v14
	s_cbranch_execnz .LBB37_67
.LBB37_59:
	s_or_b32 exec_lo, exec_lo, s0
	s_delay_alu instid0(SALU_CYCLE_1)
	s_mov_b32 s0, exec_lo
	v_cmpx_gt_u32_e64 s22, v12
	s_cbranch_execnz .LBB37_68
.LBB37_60:
	s_or_b32 exec_lo, exec_lo, s0
	s_delay_alu instid0(SALU_CYCLE_1)
	s_mov_b32 s0, exec_lo
	v_cmpx_gt_u32_e64 s22, v13
	s_cbranch_execnz .LBB37_69
.LBB37_61:
	s_or_b32 exec_lo, exec_lo, s0
	v_cmp_lt_u64_e64 s0, s[10:11], 2
	s_delay_alu instid0(VALU_DEP_1)
	s_and_b32 vcc_lo, exec_lo, s0
	s_cbranch_vccz .LBB37_70
.LBB37_62:
	s_endpgm
.LBB37_63:
	v_add_co_u32 v4, s1, s18, v15
	s_delay_alu instid0(VALU_DEP_1) | instskip(SKIP_2) | instid1(SALU_CYCLE_1)
	v_add_co_ci_u32_e64 v5, null, s19, 0, s1
	flat_load_b32 v4, v[4:5]
	s_or_b32 exec_lo, exec_lo, s25
	s_mov_b32 s1, exec_lo
	v_cmpx_gt_u32_e64 s22, v14
	s_cbranch_execz .LBB37_9
.LBB37_64:
	v_add_co_u32 v5, s25, s18, v15
	s_delay_alu instid0(VALU_DEP_1) | instskip(SKIP_2) | instid1(SALU_CYCLE_1)
	v_add_co_ci_u32_e64 v6, null, s19, 0, s25
	flat_load_b32 v1, v[5:6] offset:1024
	s_or_b32 exec_lo, exec_lo, s1
	s_mov_b32 s1, exec_lo
	v_cmpx_gt_u32_e64 s22, v12
	s_cbranch_execz .LBB37_10
.LBB37_65:
	v_add_co_u32 v5, s25, s18, v15
	s_delay_alu instid0(VALU_DEP_1) | instskip(SKIP_2) | instid1(SALU_CYCLE_1)
	v_add_co_ci_u32_e64 v6, null, s19, 0, s25
	flat_load_b32 v3, v[5:6] offset:2048
	s_or_b32 exec_lo, exec_lo, s1
	s_mov_b32 s1, exec_lo
	v_cmpx_gt_u32_e64 s22, v13
	s_cbranch_execnz .LBB37_11
	s_branch .LBB37_12
.LBB37_66:
	s_waitcnt lgkmcnt(3)
	flat_store_b32 v[2:3], v5
	s_or_b32 exec_lo, exec_lo, s0
	s_delay_alu instid0(SALU_CYCLE_1)
	s_mov_b32 s0, exec_lo
	v_cmpx_gt_u32_e64 s22, v14
	s_cbranch_execz .LBB37_59
.LBB37_67:
	s_waitcnt lgkmcnt(2)
	flat_store_b32 v[2:3], v4 offset:1024
	s_or_b32 exec_lo, exec_lo, s0
	s_delay_alu instid0(SALU_CYCLE_1)
	s_mov_b32 s0, exec_lo
	v_cmpx_gt_u32_e64 s22, v12
	s_cbranch_execz .LBB37_60
.LBB37_68:
	s_waitcnt lgkmcnt(1)
	flat_store_b32 v[2:3], v6 offset:2048
	s_or_b32 exec_lo, exec_lo, s0
	s_delay_alu instid0(SALU_CYCLE_1)
	s_mov_b32 s0, exec_lo
	v_cmpx_gt_u32_e64 s22, v13
	s_cbranch_execz .LBB37_61
.LBB37_69:
	s_waitcnt lgkmcnt(0)
	flat_store_b32 v[2:3], v7 offset:3072
	s_or_b32 exec_lo, exec_lo, s0
	v_cmp_lt_u64_e64 s0, s[10:11], 2
	s_delay_alu instid0(VALU_DEP_1)
	s_and_b32 vcc_lo, exec_lo, s0
	s_cbranch_vccnz .LBB37_62
.LBB37_70:
	s_add_u32 s0, s22, -1
	s_addc_u32 s1, s23, -1
	s_delay_alu instid0(SALU_CYCLE_1)
	s_lshr_b64 s[2:3], s[0:1], 2
	s_mov_b32 s1, exec_lo
	v_cmpx_eq_u64_e64 s[2:3], v[0:1]
	s_cbranch_execz .LBB37_62
; %bb.71:
	s_and_b32 s0, s0, 3
	s_mov_b32 s1, 0
	s_delay_alu instid0(SALU_CYCLE_1) | instskip(NEXT) | instid1(VALU_DEP_1)
	v_cmp_lt_i64_e64 s2, s[0:1], 2
	s_and_b32 vcc_lo, exec_lo, s2
	s_mov_b32 s2, -1
	s_cbranch_vccnz .LBB37_77
; %bb.72:
	v_cmp_gt_i64_e64 s2, s[0:1], 2
	s_delay_alu instid0(VALU_DEP_1)
	s_and_b32 vcc_lo, exec_lo, s2
	s_mov_b32 s2, -1
	s_cbranch_vccz .LBB37_74
; %bb.73:
	v_mov_b32_e32 v0, 0
	s_mov_b32 s2, 0
	s_waitcnt lgkmcnt(0)
	global_store_b32 v0, v7, s[6:7]
.LBB37_74:
	s_and_not1_b32 vcc_lo, exec_lo, s2
	s_cbranch_vccnz .LBB37_76
; %bb.75:
	v_mov_b32_e32 v0, 0
	s_waitcnt lgkmcnt(1)
	global_store_b32 v0, v6, s[6:7]
.LBB37_76:
	s_mov_b32 s2, 0
.LBB37_77:
	s_delay_alu instid0(SALU_CYCLE_1)
	s_and_not1_b32 vcc_lo, exec_lo, s2
	s_cbranch_vccnz .LBB37_62
; %bb.78:
	s_cmp_eq_u64 s[0:1], 1
	s_mov_b32 s0, -1
	s_cbranch_scc1 .LBB37_80
; %bb.79:
	v_mov_b32_e32 v0, 0
	s_mov_b32 s0, 0
	s_waitcnt lgkmcnt(3)
	global_store_b32 v0, v5, s[6:7]
.LBB37_80:
	s_and_not1_b32 vcc_lo, exec_lo, s0
	s_cbranch_vccnz .LBB37_62
; %bb.81:
	v_mov_b32_e32 v0, 0
	s_waitcnt lgkmcnt(2)
	global_store_b32 v0, v4, s[6:7]
	s_endpgm
	.section	.rodata,"a",@progbits
	.p2align	6, 0x0
	.amdhsa_kernel _ZN7rocprim17ROCPRIM_400000_NS6detail17trampoline_kernelINS0_14default_configENS1_20scan_config_selectorIiEEZZNS1_9scan_implILNS1_25lookback_scan_determinismE0ELb0ELb0ES3_N6thrust23THRUST_200600_302600_NS6detail15normal_iteratorINS9_10device_ptrIiEEEESE_iNS9_4plusIvEEiEEDaPvRmT3_T4_T5_mT6_P12ihipStream_tbENKUlT_T0_E_clISt17integral_constantIbLb1EESU_EEDaSP_SQ_EUlSP_E_NS1_11comp_targetILNS1_3genE9ELNS1_11target_archE1100ELNS1_3gpuE3ELNS1_3repE0EEENS1_30default_config_static_selectorELNS0_4arch9wavefront6targetE0EEEvT1_
		.amdhsa_group_segment_fixed_size 4224
		.amdhsa_private_segment_fixed_size 0
		.amdhsa_kernarg_size 96
		.amdhsa_user_sgpr_count 15
		.amdhsa_user_sgpr_dispatch_ptr 0
		.amdhsa_user_sgpr_queue_ptr 0
		.amdhsa_user_sgpr_kernarg_segment_ptr 1
		.amdhsa_user_sgpr_dispatch_id 0
		.amdhsa_user_sgpr_private_segment_size 0
		.amdhsa_wavefront_size32 1
		.amdhsa_uses_dynamic_stack 0
		.amdhsa_enable_private_segment 0
		.amdhsa_system_sgpr_workgroup_id_x 1
		.amdhsa_system_sgpr_workgroup_id_y 0
		.amdhsa_system_sgpr_workgroup_id_z 0
		.amdhsa_system_sgpr_workgroup_info 0
		.amdhsa_system_vgpr_workitem_id 0
		.amdhsa_next_free_vgpr 32
		.amdhsa_next_free_sgpr 28
		.amdhsa_reserve_vcc 1
		.amdhsa_float_round_mode_32 0
		.amdhsa_float_round_mode_16_64 0
		.amdhsa_float_denorm_mode_32 3
		.amdhsa_float_denorm_mode_16_64 3
		.amdhsa_dx10_clamp 1
		.amdhsa_ieee_mode 1
		.amdhsa_fp16_overflow 0
		.amdhsa_workgroup_processor_mode 1
		.amdhsa_memory_ordered 1
		.amdhsa_forward_progress 0
		.amdhsa_shared_vgpr_count 0
		.amdhsa_exception_fp_ieee_invalid_op 0
		.amdhsa_exception_fp_denorm_src 0
		.amdhsa_exception_fp_ieee_div_zero 0
		.amdhsa_exception_fp_ieee_overflow 0
		.amdhsa_exception_fp_ieee_underflow 0
		.amdhsa_exception_fp_ieee_inexact 0
		.amdhsa_exception_int_div_zero 0
	.end_amdhsa_kernel
	.section	.text._ZN7rocprim17ROCPRIM_400000_NS6detail17trampoline_kernelINS0_14default_configENS1_20scan_config_selectorIiEEZZNS1_9scan_implILNS1_25lookback_scan_determinismE0ELb0ELb0ES3_N6thrust23THRUST_200600_302600_NS6detail15normal_iteratorINS9_10device_ptrIiEEEESE_iNS9_4plusIvEEiEEDaPvRmT3_T4_T5_mT6_P12ihipStream_tbENKUlT_T0_E_clISt17integral_constantIbLb1EESU_EEDaSP_SQ_EUlSP_E_NS1_11comp_targetILNS1_3genE9ELNS1_11target_archE1100ELNS1_3gpuE3ELNS1_3repE0EEENS1_30default_config_static_selectorELNS0_4arch9wavefront6targetE0EEEvT1_,"axG",@progbits,_ZN7rocprim17ROCPRIM_400000_NS6detail17trampoline_kernelINS0_14default_configENS1_20scan_config_selectorIiEEZZNS1_9scan_implILNS1_25lookback_scan_determinismE0ELb0ELb0ES3_N6thrust23THRUST_200600_302600_NS6detail15normal_iteratorINS9_10device_ptrIiEEEESE_iNS9_4plusIvEEiEEDaPvRmT3_T4_T5_mT6_P12ihipStream_tbENKUlT_T0_E_clISt17integral_constantIbLb1EESU_EEDaSP_SQ_EUlSP_E_NS1_11comp_targetILNS1_3genE9ELNS1_11target_archE1100ELNS1_3gpuE3ELNS1_3repE0EEENS1_30default_config_static_selectorELNS0_4arch9wavefront6targetE0EEEvT1_,comdat
.Lfunc_end37:
	.size	_ZN7rocprim17ROCPRIM_400000_NS6detail17trampoline_kernelINS0_14default_configENS1_20scan_config_selectorIiEEZZNS1_9scan_implILNS1_25lookback_scan_determinismE0ELb0ELb0ES3_N6thrust23THRUST_200600_302600_NS6detail15normal_iteratorINS9_10device_ptrIiEEEESE_iNS9_4plusIvEEiEEDaPvRmT3_T4_T5_mT6_P12ihipStream_tbENKUlT_T0_E_clISt17integral_constantIbLb1EESU_EEDaSP_SQ_EUlSP_E_NS1_11comp_targetILNS1_3genE9ELNS1_11target_archE1100ELNS1_3gpuE3ELNS1_3repE0EEENS1_30default_config_static_selectorELNS0_4arch9wavefront6targetE0EEEvT1_, .Lfunc_end37-_ZN7rocprim17ROCPRIM_400000_NS6detail17trampoline_kernelINS0_14default_configENS1_20scan_config_selectorIiEEZZNS1_9scan_implILNS1_25lookback_scan_determinismE0ELb0ELb0ES3_N6thrust23THRUST_200600_302600_NS6detail15normal_iteratorINS9_10device_ptrIiEEEESE_iNS9_4plusIvEEiEEDaPvRmT3_T4_T5_mT6_P12ihipStream_tbENKUlT_T0_E_clISt17integral_constantIbLb1EESU_EEDaSP_SQ_EUlSP_E_NS1_11comp_targetILNS1_3genE9ELNS1_11target_archE1100ELNS1_3gpuE3ELNS1_3repE0EEENS1_30default_config_static_selectorELNS0_4arch9wavefront6targetE0EEEvT1_
                                        ; -- End function
	.section	.AMDGPU.csdata,"",@progbits
; Kernel info:
; codeLenInByte = 4232
; NumSgprs: 30
; NumVgprs: 32
; ScratchSize: 0
; MemoryBound: 0
; FloatMode: 240
; IeeeMode: 1
; LDSByteSize: 4224 bytes/workgroup (compile time only)
; SGPRBlocks: 3
; VGPRBlocks: 3
; NumSGPRsForWavesPerEU: 30
; NumVGPRsForWavesPerEU: 32
; Occupancy: 16
; WaveLimiterHint : 1
; COMPUTE_PGM_RSRC2:SCRATCH_EN: 0
; COMPUTE_PGM_RSRC2:USER_SGPR: 15
; COMPUTE_PGM_RSRC2:TRAP_HANDLER: 0
; COMPUTE_PGM_RSRC2:TGID_X_EN: 1
; COMPUTE_PGM_RSRC2:TGID_Y_EN: 0
; COMPUTE_PGM_RSRC2:TGID_Z_EN: 0
; COMPUTE_PGM_RSRC2:TIDIG_COMP_CNT: 0
	.section	.text._ZN7rocprim17ROCPRIM_400000_NS6detail17trampoline_kernelINS0_14default_configENS1_20scan_config_selectorIiEEZZNS1_9scan_implILNS1_25lookback_scan_determinismE0ELb0ELb0ES3_N6thrust23THRUST_200600_302600_NS6detail15normal_iteratorINS9_10device_ptrIiEEEESE_iNS9_4plusIvEEiEEDaPvRmT3_T4_T5_mT6_P12ihipStream_tbENKUlT_T0_E_clISt17integral_constantIbLb1EESU_EEDaSP_SQ_EUlSP_E_NS1_11comp_targetILNS1_3genE8ELNS1_11target_archE1030ELNS1_3gpuE2ELNS1_3repE0EEENS1_30default_config_static_selectorELNS0_4arch9wavefront6targetE0EEEvT1_,"axG",@progbits,_ZN7rocprim17ROCPRIM_400000_NS6detail17trampoline_kernelINS0_14default_configENS1_20scan_config_selectorIiEEZZNS1_9scan_implILNS1_25lookback_scan_determinismE0ELb0ELb0ES3_N6thrust23THRUST_200600_302600_NS6detail15normal_iteratorINS9_10device_ptrIiEEEESE_iNS9_4plusIvEEiEEDaPvRmT3_T4_T5_mT6_P12ihipStream_tbENKUlT_T0_E_clISt17integral_constantIbLb1EESU_EEDaSP_SQ_EUlSP_E_NS1_11comp_targetILNS1_3genE8ELNS1_11target_archE1030ELNS1_3gpuE2ELNS1_3repE0EEENS1_30default_config_static_selectorELNS0_4arch9wavefront6targetE0EEEvT1_,comdat
	.protected	_ZN7rocprim17ROCPRIM_400000_NS6detail17trampoline_kernelINS0_14default_configENS1_20scan_config_selectorIiEEZZNS1_9scan_implILNS1_25lookback_scan_determinismE0ELb0ELb0ES3_N6thrust23THRUST_200600_302600_NS6detail15normal_iteratorINS9_10device_ptrIiEEEESE_iNS9_4plusIvEEiEEDaPvRmT3_T4_T5_mT6_P12ihipStream_tbENKUlT_T0_E_clISt17integral_constantIbLb1EESU_EEDaSP_SQ_EUlSP_E_NS1_11comp_targetILNS1_3genE8ELNS1_11target_archE1030ELNS1_3gpuE2ELNS1_3repE0EEENS1_30default_config_static_selectorELNS0_4arch9wavefront6targetE0EEEvT1_ ; -- Begin function _ZN7rocprim17ROCPRIM_400000_NS6detail17trampoline_kernelINS0_14default_configENS1_20scan_config_selectorIiEEZZNS1_9scan_implILNS1_25lookback_scan_determinismE0ELb0ELb0ES3_N6thrust23THRUST_200600_302600_NS6detail15normal_iteratorINS9_10device_ptrIiEEEESE_iNS9_4plusIvEEiEEDaPvRmT3_T4_T5_mT6_P12ihipStream_tbENKUlT_T0_E_clISt17integral_constantIbLb1EESU_EEDaSP_SQ_EUlSP_E_NS1_11comp_targetILNS1_3genE8ELNS1_11target_archE1030ELNS1_3gpuE2ELNS1_3repE0EEENS1_30default_config_static_selectorELNS0_4arch9wavefront6targetE0EEEvT1_
	.globl	_ZN7rocprim17ROCPRIM_400000_NS6detail17trampoline_kernelINS0_14default_configENS1_20scan_config_selectorIiEEZZNS1_9scan_implILNS1_25lookback_scan_determinismE0ELb0ELb0ES3_N6thrust23THRUST_200600_302600_NS6detail15normal_iteratorINS9_10device_ptrIiEEEESE_iNS9_4plusIvEEiEEDaPvRmT3_T4_T5_mT6_P12ihipStream_tbENKUlT_T0_E_clISt17integral_constantIbLb1EESU_EEDaSP_SQ_EUlSP_E_NS1_11comp_targetILNS1_3genE8ELNS1_11target_archE1030ELNS1_3gpuE2ELNS1_3repE0EEENS1_30default_config_static_selectorELNS0_4arch9wavefront6targetE0EEEvT1_
	.p2align	8
	.type	_ZN7rocprim17ROCPRIM_400000_NS6detail17trampoline_kernelINS0_14default_configENS1_20scan_config_selectorIiEEZZNS1_9scan_implILNS1_25lookback_scan_determinismE0ELb0ELb0ES3_N6thrust23THRUST_200600_302600_NS6detail15normal_iteratorINS9_10device_ptrIiEEEESE_iNS9_4plusIvEEiEEDaPvRmT3_T4_T5_mT6_P12ihipStream_tbENKUlT_T0_E_clISt17integral_constantIbLb1EESU_EEDaSP_SQ_EUlSP_E_NS1_11comp_targetILNS1_3genE8ELNS1_11target_archE1030ELNS1_3gpuE2ELNS1_3repE0EEENS1_30default_config_static_selectorELNS0_4arch9wavefront6targetE0EEEvT1_,@function
_ZN7rocprim17ROCPRIM_400000_NS6detail17trampoline_kernelINS0_14default_configENS1_20scan_config_selectorIiEEZZNS1_9scan_implILNS1_25lookback_scan_determinismE0ELb0ELb0ES3_N6thrust23THRUST_200600_302600_NS6detail15normal_iteratorINS9_10device_ptrIiEEEESE_iNS9_4plusIvEEiEEDaPvRmT3_T4_T5_mT6_P12ihipStream_tbENKUlT_T0_E_clISt17integral_constantIbLb1EESU_EEDaSP_SQ_EUlSP_E_NS1_11comp_targetILNS1_3genE8ELNS1_11target_archE1030ELNS1_3gpuE2ELNS1_3repE0EEENS1_30default_config_static_selectorELNS0_4arch9wavefront6targetE0EEEvT1_: ; @_ZN7rocprim17ROCPRIM_400000_NS6detail17trampoline_kernelINS0_14default_configENS1_20scan_config_selectorIiEEZZNS1_9scan_implILNS1_25lookback_scan_determinismE0ELb0ELb0ES3_N6thrust23THRUST_200600_302600_NS6detail15normal_iteratorINS9_10device_ptrIiEEEESE_iNS9_4plusIvEEiEEDaPvRmT3_T4_T5_mT6_P12ihipStream_tbENKUlT_T0_E_clISt17integral_constantIbLb1EESU_EEDaSP_SQ_EUlSP_E_NS1_11comp_targetILNS1_3genE8ELNS1_11target_archE1030ELNS1_3gpuE2ELNS1_3repE0EEENS1_30default_config_static_selectorELNS0_4arch9wavefront6targetE0EEEvT1_
; %bb.0:
	.section	.rodata,"a",@progbits
	.p2align	6, 0x0
	.amdhsa_kernel _ZN7rocprim17ROCPRIM_400000_NS6detail17trampoline_kernelINS0_14default_configENS1_20scan_config_selectorIiEEZZNS1_9scan_implILNS1_25lookback_scan_determinismE0ELb0ELb0ES3_N6thrust23THRUST_200600_302600_NS6detail15normal_iteratorINS9_10device_ptrIiEEEESE_iNS9_4plusIvEEiEEDaPvRmT3_T4_T5_mT6_P12ihipStream_tbENKUlT_T0_E_clISt17integral_constantIbLb1EESU_EEDaSP_SQ_EUlSP_E_NS1_11comp_targetILNS1_3genE8ELNS1_11target_archE1030ELNS1_3gpuE2ELNS1_3repE0EEENS1_30default_config_static_selectorELNS0_4arch9wavefront6targetE0EEEvT1_
		.amdhsa_group_segment_fixed_size 0
		.amdhsa_private_segment_fixed_size 0
		.amdhsa_kernarg_size 96
		.amdhsa_user_sgpr_count 15
		.amdhsa_user_sgpr_dispatch_ptr 0
		.amdhsa_user_sgpr_queue_ptr 0
		.amdhsa_user_sgpr_kernarg_segment_ptr 1
		.amdhsa_user_sgpr_dispatch_id 0
		.amdhsa_user_sgpr_private_segment_size 0
		.amdhsa_wavefront_size32 1
		.amdhsa_uses_dynamic_stack 0
		.amdhsa_enable_private_segment 0
		.amdhsa_system_sgpr_workgroup_id_x 1
		.amdhsa_system_sgpr_workgroup_id_y 0
		.amdhsa_system_sgpr_workgroup_id_z 0
		.amdhsa_system_sgpr_workgroup_info 0
		.amdhsa_system_vgpr_workitem_id 0
		.amdhsa_next_free_vgpr 1
		.amdhsa_next_free_sgpr 1
		.amdhsa_reserve_vcc 0
		.amdhsa_float_round_mode_32 0
		.amdhsa_float_round_mode_16_64 0
		.amdhsa_float_denorm_mode_32 3
		.amdhsa_float_denorm_mode_16_64 3
		.amdhsa_dx10_clamp 1
		.amdhsa_ieee_mode 1
		.amdhsa_fp16_overflow 0
		.amdhsa_workgroup_processor_mode 1
		.amdhsa_memory_ordered 1
		.amdhsa_forward_progress 0
		.amdhsa_shared_vgpr_count 0
		.amdhsa_exception_fp_ieee_invalid_op 0
		.amdhsa_exception_fp_denorm_src 0
		.amdhsa_exception_fp_ieee_div_zero 0
		.amdhsa_exception_fp_ieee_overflow 0
		.amdhsa_exception_fp_ieee_underflow 0
		.amdhsa_exception_fp_ieee_inexact 0
		.amdhsa_exception_int_div_zero 0
	.end_amdhsa_kernel
	.section	.text._ZN7rocprim17ROCPRIM_400000_NS6detail17trampoline_kernelINS0_14default_configENS1_20scan_config_selectorIiEEZZNS1_9scan_implILNS1_25lookback_scan_determinismE0ELb0ELb0ES3_N6thrust23THRUST_200600_302600_NS6detail15normal_iteratorINS9_10device_ptrIiEEEESE_iNS9_4plusIvEEiEEDaPvRmT3_T4_T5_mT6_P12ihipStream_tbENKUlT_T0_E_clISt17integral_constantIbLb1EESU_EEDaSP_SQ_EUlSP_E_NS1_11comp_targetILNS1_3genE8ELNS1_11target_archE1030ELNS1_3gpuE2ELNS1_3repE0EEENS1_30default_config_static_selectorELNS0_4arch9wavefront6targetE0EEEvT1_,"axG",@progbits,_ZN7rocprim17ROCPRIM_400000_NS6detail17trampoline_kernelINS0_14default_configENS1_20scan_config_selectorIiEEZZNS1_9scan_implILNS1_25lookback_scan_determinismE0ELb0ELb0ES3_N6thrust23THRUST_200600_302600_NS6detail15normal_iteratorINS9_10device_ptrIiEEEESE_iNS9_4plusIvEEiEEDaPvRmT3_T4_T5_mT6_P12ihipStream_tbENKUlT_T0_E_clISt17integral_constantIbLb1EESU_EEDaSP_SQ_EUlSP_E_NS1_11comp_targetILNS1_3genE8ELNS1_11target_archE1030ELNS1_3gpuE2ELNS1_3repE0EEENS1_30default_config_static_selectorELNS0_4arch9wavefront6targetE0EEEvT1_,comdat
.Lfunc_end38:
	.size	_ZN7rocprim17ROCPRIM_400000_NS6detail17trampoline_kernelINS0_14default_configENS1_20scan_config_selectorIiEEZZNS1_9scan_implILNS1_25lookback_scan_determinismE0ELb0ELb0ES3_N6thrust23THRUST_200600_302600_NS6detail15normal_iteratorINS9_10device_ptrIiEEEESE_iNS9_4plusIvEEiEEDaPvRmT3_T4_T5_mT6_P12ihipStream_tbENKUlT_T0_E_clISt17integral_constantIbLb1EESU_EEDaSP_SQ_EUlSP_E_NS1_11comp_targetILNS1_3genE8ELNS1_11target_archE1030ELNS1_3gpuE2ELNS1_3repE0EEENS1_30default_config_static_selectorELNS0_4arch9wavefront6targetE0EEEvT1_, .Lfunc_end38-_ZN7rocprim17ROCPRIM_400000_NS6detail17trampoline_kernelINS0_14default_configENS1_20scan_config_selectorIiEEZZNS1_9scan_implILNS1_25lookback_scan_determinismE0ELb0ELb0ES3_N6thrust23THRUST_200600_302600_NS6detail15normal_iteratorINS9_10device_ptrIiEEEESE_iNS9_4plusIvEEiEEDaPvRmT3_T4_T5_mT6_P12ihipStream_tbENKUlT_T0_E_clISt17integral_constantIbLb1EESU_EEDaSP_SQ_EUlSP_E_NS1_11comp_targetILNS1_3genE8ELNS1_11target_archE1030ELNS1_3gpuE2ELNS1_3repE0EEENS1_30default_config_static_selectorELNS0_4arch9wavefront6targetE0EEEvT1_
                                        ; -- End function
	.section	.AMDGPU.csdata,"",@progbits
; Kernel info:
; codeLenInByte = 0
; NumSgprs: 0
; NumVgprs: 0
; ScratchSize: 0
; MemoryBound: 0
; FloatMode: 240
; IeeeMode: 1
; LDSByteSize: 0 bytes/workgroup (compile time only)
; SGPRBlocks: 0
; VGPRBlocks: 0
; NumSGPRsForWavesPerEU: 1
; NumVGPRsForWavesPerEU: 1
; Occupancy: 16
; WaveLimiterHint : 0
; COMPUTE_PGM_RSRC2:SCRATCH_EN: 0
; COMPUTE_PGM_RSRC2:USER_SGPR: 15
; COMPUTE_PGM_RSRC2:TRAP_HANDLER: 0
; COMPUTE_PGM_RSRC2:TGID_X_EN: 1
; COMPUTE_PGM_RSRC2:TGID_Y_EN: 0
; COMPUTE_PGM_RSRC2:TGID_Z_EN: 0
; COMPUTE_PGM_RSRC2:TIDIG_COMP_CNT: 0
	.section	.text._ZN7rocprim17ROCPRIM_400000_NS6detail17trampoline_kernelINS0_14default_configENS1_20scan_config_selectorIiEEZZNS1_9scan_implILNS1_25lookback_scan_determinismE0ELb0ELb0ES3_N6thrust23THRUST_200600_302600_NS6detail15normal_iteratorINS9_10device_ptrIiEEEESE_iNS9_4plusIvEEiEEDaPvRmT3_T4_T5_mT6_P12ihipStream_tbENKUlT_T0_E_clISt17integral_constantIbLb1EESU_EEDaSP_SQ_EUlSP_E0_NS1_11comp_targetILNS1_3genE0ELNS1_11target_archE4294967295ELNS1_3gpuE0ELNS1_3repE0EEENS1_30default_config_static_selectorELNS0_4arch9wavefront6targetE0EEEvT1_,"axG",@progbits,_ZN7rocprim17ROCPRIM_400000_NS6detail17trampoline_kernelINS0_14default_configENS1_20scan_config_selectorIiEEZZNS1_9scan_implILNS1_25lookback_scan_determinismE0ELb0ELb0ES3_N6thrust23THRUST_200600_302600_NS6detail15normal_iteratorINS9_10device_ptrIiEEEESE_iNS9_4plusIvEEiEEDaPvRmT3_T4_T5_mT6_P12ihipStream_tbENKUlT_T0_E_clISt17integral_constantIbLb1EESU_EEDaSP_SQ_EUlSP_E0_NS1_11comp_targetILNS1_3genE0ELNS1_11target_archE4294967295ELNS1_3gpuE0ELNS1_3repE0EEENS1_30default_config_static_selectorELNS0_4arch9wavefront6targetE0EEEvT1_,comdat
	.protected	_ZN7rocprim17ROCPRIM_400000_NS6detail17trampoline_kernelINS0_14default_configENS1_20scan_config_selectorIiEEZZNS1_9scan_implILNS1_25lookback_scan_determinismE0ELb0ELb0ES3_N6thrust23THRUST_200600_302600_NS6detail15normal_iteratorINS9_10device_ptrIiEEEESE_iNS9_4plusIvEEiEEDaPvRmT3_T4_T5_mT6_P12ihipStream_tbENKUlT_T0_E_clISt17integral_constantIbLb1EESU_EEDaSP_SQ_EUlSP_E0_NS1_11comp_targetILNS1_3genE0ELNS1_11target_archE4294967295ELNS1_3gpuE0ELNS1_3repE0EEENS1_30default_config_static_selectorELNS0_4arch9wavefront6targetE0EEEvT1_ ; -- Begin function _ZN7rocprim17ROCPRIM_400000_NS6detail17trampoline_kernelINS0_14default_configENS1_20scan_config_selectorIiEEZZNS1_9scan_implILNS1_25lookback_scan_determinismE0ELb0ELb0ES3_N6thrust23THRUST_200600_302600_NS6detail15normal_iteratorINS9_10device_ptrIiEEEESE_iNS9_4plusIvEEiEEDaPvRmT3_T4_T5_mT6_P12ihipStream_tbENKUlT_T0_E_clISt17integral_constantIbLb1EESU_EEDaSP_SQ_EUlSP_E0_NS1_11comp_targetILNS1_3genE0ELNS1_11target_archE4294967295ELNS1_3gpuE0ELNS1_3repE0EEENS1_30default_config_static_selectorELNS0_4arch9wavefront6targetE0EEEvT1_
	.globl	_ZN7rocprim17ROCPRIM_400000_NS6detail17trampoline_kernelINS0_14default_configENS1_20scan_config_selectorIiEEZZNS1_9scan_implILNS1_25lookback_scan_determinismE0ELb0ELb0ES3_N6thrust23THRUST_200600_302600_NS6detail15normal_iteratorINS9_10device_ptrIiEEEESE_iNS9_4plusIvEEiEEDaPvRmT3_T4_T5_mT6_P12ihipStream_tbENKUlT_T0_E_clISt17integral_constantIbLb1EESU_EEDaSP_SQ_EUlSP_E0_NS1_11comp_targetILNS1_3genE0ELNS1_11target_archE4294967295ELNS1_3gpuE0ELNS1_3repE0EEENS1_30default_config_static_selectorELNS0_4arch9wavefront6targetE0EEEvT1_
	.p2align	8
	.type	_ZN7rocprim17ROCPRIM_400000_NS6detail17trampoline_kernelINS0_14default_configENS1_20scan_config_selectorIiEEZZNS1_9scan_implILNS1_25lookback_scan_determinismE0ELb0ELb0ES3_N6thrust23THRUST_200600_302600_NS6detail15normal_iteratorINS9_10device_ptrIiEEEESE_iNS9_4plusIvEEiEEDaPvRmT3_T4_T5_mT6_P12ihipStream_tbENKUlT_T0_E_clISt17integral_constantIbLb1EESU_EEDaSP_SQ_EUlSP_E0_NS1_11comp_targetILNS1_3genE0ELNS1_11target_archE4294967295ELNS1_3gpuE0ELNS1_3repE0EEENS1_30default_config_static_selectorELNS0_4arch9wavefront6targetE0EEEvT1_,@function
_ZN7rocprim17ROCPRIM_400000_NS6detail17trampoline_kernelINS0_14default_configENS1_20scan_config_selectorIiEEZZNS1_9scan_implILNS1_25lookback_scan_determinismE0ELb0ELb0ES3_N6thrust23THRUST_200600_302600_NS6detail15normal_iteratorINS9_10device_ptrIiEEEESE_iNS9_4plusIvEEiEEDaPvRmT3_T4_T5_mT6_P12ihipStream_tbENKUlT_T0_E_clISt17integral_constantIbLb1EESU_EEDaSP_SQ_EUlSP_E0_NS1_11comp_targetILNS1_3genE0ELNS1_11target_archE4294967295ELNS1_3gpuE0ELNS1_3repE0EEENS1_30default_config_static_selectorELNS0_4arch9wavefront6targetE0EEEvT1_: ; @_ZN7rocprim17ROCPRIM_400000_NS6detail17trampoline_kernelINS0_14default_configENS1_20scan_config_selectorIiEEZZNS1_9scan_implILNS1_25lookback_scan_determinismE0ELb0ELb0ES3_N6thrust23THRUST_200600_302600_NS6detail15normal_iteratorINS9_10device_ptrIiEEEESE_iNS9_4plusIvEEiEEDaPvRmT3_T4_T5_mT6_P12ihipStream_tbENKUlT_T0_E_clISt17integral_constantIbLb1EESU_EEDaSP_SQ_EUlSP_E0_NS1_11comp_targetILNS1_3genE0ELNS1_11target_archE4294967295ELNS1_3gpuE0ELNS1_3repE0EEENS1_30default_config_static_selectorELNS0_4arch9wavefront6targetE0EEEvT1_
; %bb.0:
	.section	.rodata,"a",@progbits
	.p2align	6, 0x0
	.amdhsa_kernel _ZN7rocprim17ROCPRIM_400000_NS6detail17trampoline_kernelINS0_14default_configENS1_20scan_config_selectorIiEEZZNS1_9scan_implILNS1_25lookback_scan_determinismE0ELb0ELb0ES3_N6thrust23THRUST_200600_302600_NS6detail15normal_iteratorINS9_10device_ptrIiEEEESE_iNS9_4plusIvEEiEEDaPvRmT3_T4_T5_mT6_P12ihipStream_tbENKUlT_T0_E_clISt17integral_constantIbLb1EESU_EEDaSP_SQ_EUlSP_E0_NS1_11comp_targetILNS1_3genE0ELNS1_11target_archE4294967295ELNS1_3gpuE0ELNS1_3repE0EEENS1_30default_config_static_selectorELNS0_4arch9wavefront6targetE0EEEvT1_
		.amdhsa_group_segment_fixed_size 0
		.amdhsa_private_segment_fixed_size 0
		.amdhsa_kernarg_size 32
		.amdhsa_user_sgpr_count 15
		.amdhsa_user_sgpr_dispatch_ptr 0
		.amdhsa_user_sgpr_queue_ptr 0
		.amdhsa_user_sgpr_kernarg_segment_ptr 1
		.amdhsa_user_sgpr_dispatch_id 0
		.amdhsa_user_sgpr_private_segment_size 0
		.amdhsa_wavefront_size32 1
		.amdhsa_uses_dynamic_stack 0
		.amdhsa_enable_private_segment 0
		.amdhsa_system_sgpr_workgroup_id_x 1
		.amdhsa_system_sgpr_workgroup_id_y 0
		.amdhsa_system_sgpr_workgroup_id_z 0
		.amdhsa_system_sgpr_workgroup_info 0
		.amdhsa_system_vgpr_workitem_id 0
		.amdhsa_next_free_vgpr 1
		.amdhsa_next_free_sgpr 1
		.amdhsa_reserve_vcc 0
		.amdhsa_float_round_mode_32 0
		.amdhsa_float_round_mode_16_64 0
		.amdhsa_float_denorm_mode_32 3
		.amdhsa_float_denorm_mode_16_64 3
		.amdhsa_dx10_clamp 1
		.amdhsa_ieee_mode 1
		.amdhsa_fp16_overflow 0
		.amdhsa_workgroup_processor_mode 1
		.amdhsa_memory_ordered 1
		.amdhsa_forward_progress 0
		.amdhsa_shared_vgpr_count 0
		.amdhsa_exception_fp_ieee_invalid_op 0
		.amdhsa_exception_fp_denorm_src 0
		.amdhsa_exception_fp_ieee_div_zero 0
		.amdhsa_exception_fp_ieee_overflow 0
		.amdhsa_exception_fp_ieee_underflow 0
		.amdhsa_exception_fp_ieee_inexact 0
		.amdhsa_exception_int_div_zero 0
	.end_amdhsa_kernel
	.section	.text._ZN7rocprim17ROCPRIM_400000_NS6detail17trampoline_kernelINS0_14default_configENS1_20scan_config_selectorIiEEZZNS1_9scan_implILNS1_25lookback_scan_determinismE0ELb0ELb0ES3_N6thrust23THRUST_200600_302600_NS6detail15normal_iteratorINS9_10device_ptrIiEEEESE_iNS9_4plusIvEEiEEDaPvRmT3_T4_T5_mT6_P12ihipStream_tbENKUlT_T0_E_clISt17integral_constantIbLb1EESU_EEDaSP_SQ_EUlSP_E0_NS1_11comp_targetILNS1_3genE0ELNS1_11target_archE4294967295ELNS1_3gpuE0ELNS1_3repE0EEENS1_30default_config_static_selectorELNS0_4arch9wavefront6targetE0EEEvT1_,"axG",@progbits,_ZN7rocprim17ROCPRIM_400000_NS6detail17trampoline_kernelINS0_14default_configENS1_20scan_config_selectorIiEEZZNS1_9scan_implILNS1_25lookback_scan_determinismE0ELb0ELb0ES3_N6thrust23THRUST_200600_302600_NS6detail15normal_iteratorINS9_10device_ptrIiEEEESE_iNS9_4plusIvEEiEEDaPvRmT3_T4_T5_mT6_P12ihipStream_tbENKUlT_T0_E_clISt17integral_constantIbLb1EESU_EEDaSP_SQ_EUlSP_E0_NS1_11comp_targetILNS1_3genE0ELNS1_11target_archE4294967295ELNS1_3gpuE0ELNS1_3repE0EEENS1_30default_config_static_selectorELNS0_4arch9wavefront6targetE0EEEvT1_,comdat
.Lfunc_end39:
	.size	_ZN7rocprim17ROCPRIM_400000_NS6detail17trampoline_kernelINS0_14default_configENS1_20scan_config_selectorIiEEZZNS1_9scan_implILNS1_25lookback_scan_determinismE0ELb0ELb0ES3_N6thrust23THRUST_200600_302600_NS6detail15normal_iteratorINS9_10device_ptrIiEEEESE_iNS9_4plusIvEEiEEDaPvRmT3_T4_T5_mT6_P12ihipStream_tbENKUlT_T0_E_clISt17integral_constantIbLb1EESU_EEDaSP_SQ_EUlSP_E0_NS1_11comp_targetILNS1_3genE0ELNS1_11target_archE4294967295ELNS1_3gpuE0ELNS1_3repE0EEENS1_30default_config_static_selectorELNS0_4arch9wavefront6targetE0EEEvT1_, .Lfunc_end39-_ZN7rocprim17ROCPRIM_400000_NS6detail17trampoline_kernelINS0_14default_configENS1_20scan_config_selectorIiEEZZNS1_9scan_implILNS1_25lookback_scan_determinismE0ELb0ELb0ES3_N6thrust23THRUST_200600_302600_NS6detail15normal_iteratorINS9_10device_ptrIiEEEESE_iNS9_4plusIvEEiEEDaPvRmT3_T4_T5_mT6_P12ihipStream_tbENKUlT_T0_E_clISt17integral_constantIbLb1EESU_EEDaSP_SQ_EUlSP_E0_NS1_11comp_targetILNS1_3genE0ELNS1_11target_archE4294967295ELNS1_3gpuE0ELNS1_3repE0EEENS1_30default_config_static_selectorELNS0_4arch9wavefront6targetE0EEEvT1_
                                        ; -- End function
	.section	.AMDGPU.csdata,"",@progbits
; Kernel info:
; codeLenInByte = 0
; NumSgprs: 0
; NumVgprs: 0
; ScratchSize: 0
; MemoryBound: 0
; FloatMode: 240
; IeeeMode: 1
; LDSByteSize: 0 bytes/workgroup (compile time only)
; SGPRBlocks: 0
; VGPRBlocks: 0
; NumSGPRsForWavesPerEU: 1
; NumVGPRsForWavesPerEU: 1
; Occupancy: 16
; WaveLimiterHint : 0
; COMPUTE_PGM_RSRC2:SCRATCH_EN: 0
; COMPUTE_PGM_RSRC2:USER_SGPR: 15
; COMPUTE_PGM_RSRC2:TRAP_HANDLER: 0
; COMPUTE_PGM_RSRC2:TGID_X_EN: 1
; COMPUTE_PGM_RSRC2:TGID_Y_EN: 0
; COMPUTE_PGM_RSRC2:TGID_Z_EN: 0
; COMPUTE_PGM_RSRC2:TIDIG_COMP_CNT: 0
	.section	.text._ZN7rocprim17ROCPRIM_400000_NS6detail17trampoline_kernelINS0_14default_configENS1_20scan_config_selectorIiEEZZNS1_9scan_implILNS1_25lookback_scan_determinismE0ELb0ELb0ES3_N6thrust23THRUST_200600_302600_NS6detail15normal_iteratorINS9_10device_ptrIiEEEESE_iNS9_4plusIvEEiEEDaPvRmT3_T4_T5_mT6_P12ihipStream_tbENKUlT_T0_E_clISt17integral_constantIbLb1EESU_EEDaSP_SQ_EUlSP_E0_NS1_11comp_targetILNS1_3genE5ELNS1_11target_archE942ELNS1_3gpuE9ELNS1_3repE0EEENS1_30default_config_static_selectorELNS0_4arch9wavefront6targetE0EEEvT1_,"axG",@progbits,_ZN7rocprim17ROCPRIM_400000_NS6detail17trampoline_kernelINS0_14default_configENS1_20scan_config_selectorIiEEZZNS1_9scan_implILNS1_25lookback_scan_determinismE0ELb0ELb0ES3_N6thrust23THRUST_200600_302600_NS6detail15normal_iteratorINS9_10device_ptrIiEEEESE_iNS9_4plusIvEEiEEDaPvRmT3_T4_T5_mT6_P12ihipStream_tbENKUlT_T0_E_clISt17integral_constantIbLb1EESU_EEDaSP_SQ_EUlSP_E0_NS1_11comp_targetILNS1_3genE5ELNS1_11target_archE942ELNS1_3gpuE9ELNS1_3repE0EEENS1_30default_config_static_selectorELNS0_4arch9wavefront6targetE0EEEvT1_,comdat
	.protected	_ZN7rocprim17ROCPRIM_400000_NS6detail17trampoline_kernelINS0_14default_configENS1_20scan_config_selectorIiEEZZNS1_9scan_implILNS1_25lookback_scan_determinismE0ELb0ELb0ES3_N6thrust23THRUST_200600_302600_NS6detail15normal_iteratorINS9_10device_ptrIiEEEESE_iNS9_4plusIvEEiEEDaPvRmT3_T4_T5_mT6_P12ihipStream_tbENKUlT_T0_E_clISt17integral_constantIbLb1EESU_EEDaSP_SQ_EUlSP_E0_NS1_11comp_targetILNS1_3genE5ELNS1_11target_archE942ELNS1_3gpuE9ELNS1_3repE0EEENS1_30default_config_static_selectorELNS0_4arch9wavefront6targetE0EEEvT1_ ; -- Begin function _ZN7rocprim17ROCPRIM_400000_NS6detail17trampoline_kernelINS0_14default_configENS1_20scan_config_selectorIiEEZZNS1_9scan_implILNS1_25lookback_scan_determinismE0ELb0ELb0ES3_N6thrust23THRUST_200600_302600_NS6detail15normal_iteratorINS9_10device_ptrIiEEEESE_iNS9_4plusIvEEiEEDaPvRmT3_T4_T5_mT6_P12ihipStream_tbENKUlT_T0_E_clISt17integral_constantIbLb1EESU_EEDaSP_SQ_EUlSP_E0_NS1_11comp_targetILNS1_3genE5ELNS1_11target_archE942ELNS1_3gpuE9ELNS1_3repE0EEENS1_30default_config_static_selectorELNS0_4arch9wavefront6targetE0EEEvT1_
	.globl	_ZN7rocprim17ROCPRIM_400000_NS6detail17trampoline_kernelINS0_14default_configENS1_20scan_config_selectorIiEEZZNS1_9scan_implILNS1_25lookback_scan_determinismE0ELb0ELb0ES3_N6thrust23THRUST_200600_302600_NS6detail15normal_iteratorINS9_10device_ptrIiEEEESE_iNS9_4plusIvEEiEEDaPvRmT3_T4_T5_mT6_P12ihipStream_tbENKUlT_T0_E_clISt17integral_constantIbLb1EESU_EEDaSP_SQ_EUlSP_E0_NS1_11comp_targetILNS1_3genE5ELNS1_11target_archE942ELNS1_3gpuE9ELNS1_3repE0EEENS1_30default_config_static_selectorELNS0_4arch9wavefront6targetE0EEEvT1_
	.p2align	8
	.type	_ZN7rocprim17ROCPRIM_400000_NS6detail17trampoline_kernelINS0_14default_configENS1_20scan_config_selectorIiEEZZNS1_9scan_implILNS1_25lookback_scan_determinismE0ELb0ELb0ES3_N6thrust23THRUST_200600_302600_NS6detail15normal_iteratorINS9_10device_ptrIiEEEESE_iNS9_4plusIvEEiEEDaPvRmT3_T4_T5_mT6_P12ihipStream_tbENKUlT_T0_E_clISt17integral_constantIbLb1EESU_EEDaSP_SQ_EUlSP_E0_NS1_11comp_targetILNS1_3genE5ELNS1_11target_archE942ELNS1_3gpuE9ELNS1_3repE0EEENS1_30default_config_static_selectorELNS0_4arch9wavefront6targetE0EEEvT1_,@function
_ZN7rocprim17ROCPRIM_400000_NS6detail17trampoline_kernelINS0_14default_configENS1_20scan_config_selectorIiEEZZNS1_9scan_implILNS1_25lookback_scan_determinismE0ELb0ELb0ES3_N6thrust23THRUST_200600_302600_NS6detail15normal_iteratorINS9_10device_ptrIiEEEESE_iNS9_4plusIvEEiEEDaPvRmT3_T4_T5_mT6_P12ihipStream_tbENKUlT_T0_E_clISt17integral_constantIbLb1EESU_EEDaSP_SQ_EUlSP_E0_NS1_11comp_targetILNS1_3genE5ELNS1_11target_archE942ELNS1_3gpuE9ELNS1_3repE0EEENS1_30default_config_static_selectorELNS0_4arch9wavefront6targetE0EEEvT1_: ; @_ZN7rocprim17ROCPRIM_400000_NS6detail17trampoline_kernelINS0_14default_configENS1_20scan_config_selectorIiEEZZNS1_9scan_implILNS1_25lookback_scan_determinismE0ELb0ELb0ES3_N6thrust23THRUST_200600_302600_NS6detail15normal_iteratorINS9_10device_ptrIiEEEESE_iNS9_4plusIvEEiEEDaPvRmT3_T4_T5_mT6_P12ihipStream_tbENKUlT_T0_E_clISt17integral_constantIbLb1EESU_EEDaSP_SQ_EUlSP_E0_NS1_11comp_targetILNS1_3genE5ELNS1_11target_archE942ELNS1_3gpuE9ELNS1_3repE0EEENS1_30default_config_static_selectorELNS0_4arch9wavefront6targetE0EEEvT1_
; %bb.0:
	.section	.rodata,"a",@progbits
	.p2align	6, 0x0
	.amdhsa_kernel _ZN7rocprim17ROCPRIM_400000_NS6detail17trampoline_kernelINS0_14default_configENS1_20scan_config_selectorIiEEZZNS1_9scan_implILNS1_25lookback_scan_determinismE0ELb0ELb0ES3_N6thrust23THRUST_200600_302600_NS6detail15normal_iteratorINS9_10device_ptrIiEEEESE_iNS9_4plusIvEEiEEDaPvRmT3_T4_T5_mT6_P12ihipStream_tbENKUlT_T0_E_clISt17integral_constantIbLb1EESU_EEDaSP_SQ_EUlSP_E0_NS1_11comp_targetILNS1_3genE5ELNS1_11target_archE942ELNS1_3gpuE9ELNS1_3repE0EEENS1_30default_config_static_selectorELNS0_4arch9wavefront6targetE0EEEvT1_
		.amdhsa_group_segment_fixed_size 0
		.amdhsa_private_segment_fixed_size 0
		.amdhsa_kernarg_size 32
		.amdhsa_user_sgpr_count 15
		.amdhsa_user_sgpr_dispatch_ptr 0
		.amdhsa_user_sgpr_queue_ptr 0
		.amdhsa_user_sgpr_kernarg_segment_ptr 1
		.amdhsa_user_sgpr_dispatch_id 0
		.amdhsa_user_sgpr_private_segment_size 0
		.amdhsa_wavefront_size32 1
		.amdhsa_uses_dynamic_stack 0
		.amdhsa_enable_private_segment 0
		.amdhsa_system_sgpr_workgroup_id_x 1
		.amdhsa_system_sgpr_workgroup_id_y 0
		.amdhsa_system_sgpr_workgroup_id_z 0
		.amdhsa_system_sgpr_workgroup_info 0
		.amdhsa_system_vgpr_workitem_id 0
		.amdhsa_next_free_vgpr 1
		.amdhsa_next_free_sgpr 1
		.amdhsa_reserve_vcc 0
		.amdhsa_float_round_mode_32 0
		.amdhsa_float_round_mode_16_64 0
		.amdhsa_float_denorm_mode_32 3
		.amdhsa_float_denorm_mode_16_64 3
		.amdhsa_dx10_clamp 1
		.amdhsa_ieee_mode 1
		.amdhsa_fp16_overflow 0
		.amdhsa_workgroup_processor_mode 1
		.amdhsa_memory_ordered 1
		.amdhsa_forward_progress 0
		.amdhsa_shared_vgpr_count 0
		.amdhsa_exception_fp_ieee_invalid_op 0
		.amdhsa_exception_fp_denorm_src 0
		.amdhsa_exception_fp_ieee_div_zero 0
		.amdhsa_exception_fp_ieee_overflow 0
		.amdhsa_exception_fp_ieee_underflow 0
		.amdhsa_exception_fp_ieee_inexact 0
		.amdhsa_exception_int_div_zero 0
	.end_amdhsa_kernel
	.section	.text._ZN7rocprim17ROCPRIM_400000_NS6detail17trampoline_kernelINS0_14default_configENS1_20scan_config_selectorIiEEZZNS1_9scan_implILNS1_25lookback_scan_determinismE0ELb0ELb0ES3_N6thrust23THRUST_200600_302600_NS6detail15normal_iteratorINS9_10device_ptrIiEEEESE_iNS9_4plusIvEEiEEDaPvRmT3_T4_T5_mT6_P12ihipStream_tbENKUlT_T0_E_clISt17integral_constantIbLb1EESU_EEDaSP_SQ_EUlSP_E0_NS1_11comp_targetILNS1_3genE5ELNS1_11target_archE942ELNS1_3gpuE9ELNS1_3repE0EEENS1_30default_config_static_selectorELNS0_4arch9wavefront6targetE0EEEvT1_,"axG",@progbits,_ZN7rocprim17ROCPRIM_400000_NS6detail17trampoline_kernelINS0_14default_configENS1_20scan_config_selectorIiEEZZNS1_9scan_implILNS1_25lookback_scan_determinismE0ELb0ELb0ES3_N6thrust23THRUST_200600_302600_NS6detail15normal_iteratorINS9_10device_ptrIiEEEESE_iNS9_4plusIvEEiEEDaPvRmT3_T4_T5_mT6_P12ihipStream_tbENKUlT_T0_E_clISt17integral_constantIbLb1EESU_EEDaSP_SQ_EUlSP_E0_NS1_11comp_targetILNS1_3genE5ELNS1_11target_archE942ELNS1_3gpuE9ELNS1_3repE0EEENS1_30default_config_static_selectorELNS0_4arch9wavefront6targetE0EEEvT1_,comdat
.Lfunc_end40:
	.size	_ZN7rocprim17ROCPRIM_400000_NS6detail17trampoline_kernelINS0_14default_configENS1_20scan_config_selectorIiEEZZNS1_9scan_implILNS1_25lookback_scan_determinismE0ELb0ELb0ES3_N6thrust23THRUST_200600_302600_NS6detail15normal_iteratorINS9_10device_ptrIiEEEESE_iNS9_4plusIvEEiEEDaPvRmT3_T4_T5_mT6_P12ihipStream_tbENKUlT_T0_E_clISt17integral_constantIbLb1EESU_EEDaSP_SQ_EUlSP_E0_NS1_11comp_targetILNS1_3genE5ELNS1_11target_archE942ELNS1_3gpuE9ELNS1_3repE0EEENS1_30default_config_static_selectorELNS0_4arch9wavefront6targetE0EEEvT1_, .Lfunc_end40-_ZN7rocprim17ROCPRIM_400000_NS6detail17trampoline_kernelINS0_14default_configENS1_20scan_config_selectorIiEEZZNS1_9scan_implILNS1_25lookback_scan_determinismE0ELb0ELb0ES3_N6thrust23THRUST_200600_302600_NS6detail15normal_iteratorINS9_10device_ptrIiEEEESE_iNS9_4plusIvEEiEEDaPvRmT3_T4_T5_mT6_P12ihipStream_tbENKUlT_T0_E_clISt17integral_constantIbLb1EESU_EEDaSP_SQ_EUlSP_E0_NS1_11comp_targetILNS1_3genE5ELNS1_11target_archE942ELNS1_3gpuE9ELNS1_3repE0EEENS1_30default_config_static_selectorELNS0_4arch9wavefront6targetE0EEEvT1_
                                        ; -- End function
	.section	.AMDGPU.csdata,"",@progbits
; Kernel info:
; codeLenInByte = 0
; NumSgprs: 0
; NumVgprs: 0
; ScratchSize: 0
; MemoryBound: 0
; FloatMode: 240
; IeeeMode: 1
; LDSByteSize: 0 bytes/workgroup (compile time only)
; SGPRBlocks: 0
; VGPRBlocks: 0
; NumSGPRsForWavesPerEU: 1
; NumVGPRsForWavesPerEU: 1
; Occupancy: 16
; WaveLimiterHint : 0
; COMPUTE_PGM_RSRC2:SCRATCH_EN: 0
; COMPUTE_PGM_RSRC2:USER_SGPR: 15
; COMPUTE_PGM_RSRC2:TRAP_HANDLER: 0
; COMPUTE_PGM_RSRC2:TGID_X_EN: 1
; COMPUTE_PGM_RSRC2:TGID_Y_EN: 0
; COMPUTE_PGM_RSRC2:TGID_Z_EN: 0
; COMPUTE_PGM_RSRC2:TIDIG_COMP_CNT: 0
	.section	.text._ZN7rocprim17ROCPRIM_400000_NS6detail17trampoline_kernelINS0_14default_configENS1_20scan_config_selectorIiEEZZNS1_9scan_implILNS1_25lookback_scan_determinismE0ELb0ELb0ES3_N6thrust23THRUST_200600_302600_NS6detail15normal_iteratorINS9_10device_ptrIiEEEESE_iNS9_4plusIvEEiEEDaPvRmT3_T4_T5_mT6_P12ihipStream_tbENKUlT_T0_E_clISt17integral_constantIbLb1EESU_EEDaSP_SQ_EUlSP_E0_NS1_11comp_targetILNS1_3genE4ELNS1_11target_archE910ELNS1_3gpuE8ELNS1_3repE0EEENS1_30default_config_static_selectorELNS0_4arch9wavefront6targetE0EEEvT1_,"axG",@progbits,_ZN7rocprim17ROCPRIM_400000_NS6detail17trampoline_kernelINS0_14default_configENS1_20scan_config_selectorIiEEZZNS1_9scan_implILNS1_25lookback_scan_determinismE0ELb0ELb0ES3_N6thrust23THRUST_200600_302600_NS6detail15normal_iteratorINS9_10device_ptrIiEEEESE_iNS9_4plusIvEEiEEDaPvRmT3_T4_T5_mT6_P12ihipStream_tbENKUlT_T0_E_clISt17integral_constantIbLb1EESU_EEDaSP_SQ_EUlSP_E0_NS1_11comp_targetILNS1_3genE4ELNS1_11target_archE910ELNS1_3gpuE8ELNS1_3repE0EEENS1_30default_config_static_selectorELNS0_4arch9wavefront6targetE0EEEvT1_,comdat
	.protected	_ZN7rocprim17ROCPRIM_400000_NS6detail17trampoline_kernelINS0_14default_configENS1_20scan_config_selectorIiEEZZNS1_9scan_implILNS1_25lookback_scan_determinismE0ELb0ELb0ES3_N6thrust23THRUST_200600_302600_NS6detail15normal_iteratorINS9_10device_ptrIiEEEESE_iNS9_4plusIvEEiEEDaPvRmT3_T4_T5_mT6_P12ihipStream_tbENKUlT_T0_E_clISt17integral_constantIbLb1EESU_EEDaSP_SQ_EUlSP_E0_NS1_11comp_targetILNS1_3genE4ELNS1_11target_archE910ELNS1_3gpuE8ELNS1_3repE0EEENS1_30default_config_static_selectorELNS0_4arch9wavefront6targetE0EEEvT1_ ; -- Begin function _ZN7rocprim17ROCPRIM_400000_NS6detail17trampoline_kernelINS0_14default_configENS1_20scan_config_selectorIiEEZZNS1_9scan_implILNS1_25lookback_scan_determinismE0ELb0ELb0ES3_N6thrust23THRUST_200600_302600_NS6detail15normal_iteratorINS9_10device_ptrIiEEEESE_iNS9_4plusIvEEiEEDaPvRmT3_T4_T5_mT6_P12ihipStream_tbENKUlT_T0_E_clISt17integral_constantIbLb1EESU_EEDaSP_SQ_EUlSP_E0_NS1_11comp_targetILNS1_3genE4ELNS1_11target_archE910ELNS1_3gpuE8ELNS1_3repE0EEENS1_30default_config_static_selectorELNS0_4arch9wavefront6targetE0EEEvT1_
	.globl	_ZN7rocprim17ROCPRIM_400000_NS6detail17trampoline_kernelINS0_14default_configENS1_20scan_config_selectorIiEEZZNS1_9scan_implILNS1_25lookback_scan_determinismE0ELb0ELb0ES3_N6thrust23THRUST_200600_302600_NS6detail15normal_iteratorINS9_10device_ptrIiEEEESE_iNS9_4plusIvEEiEEDaPvRmT3_T4_T5_mT6_P12ihipStream_tbENKUlT_T0_E_clISt17integral_constantIbLb1EESU_EEDaSP_SQ_EUlSP_E0_NS1_11comp_targetILNS1_3genE4ELNS1_11target_archE910ELNS1_3gpuE8ELNS1_3repE0EEENS1_30default_config_static_selectorELNS0_4arch9wavefront6targetE0EEEvT1_
	.p2align	8
	.type	_ZN7rocprim17ROCPRIM_400000_NS6detail17trampoline_kernelINS0_14default_configENS1_20scan_config_selectorIiEEZZNS1_9scan_implILNS1_25lookback_scan_determinismE0ELb0ELb0ES3_N6thrust23THRUST_200600_302600_NS6detail15normal_iteratorINS9_10device_ptrIiEEEESE_iNS9_4plusIvEEiEEDaPvRmT3_T4_T5_mT6_P12ihipStream_tbENKUlT_T0_E_clISt17integral_constantIbLb1EESU_EEDaSP_SQ_EUlSP_E0_NS1_11comp_targetILNS1_3genE4ELNS1_11target_archE910ELNS1_3gpuE8ELNS1_3repE0EEENS1_30default_config_static_selectorELNS0_4arch9wavefront6targetE0EEEvT1_,@function
_ZN7rocprim17ROCPRIM_400000_NS6detail17trampoline_kernelINS0_14default_configENS1_20scan_config_selectorIiEEZZNS1_9scan_implILNS1_25lookback_scan_determinismE0ELb0ELb0ES3_N6thrust23THRUST_200600_302600_NS6detail15normal_iteratorINS9_10device_ptrIiEEEESE_iNS9_4plusIvEEiEEDaPvRmT3_T4_T5_mT6_P12ihipStream_tbENKUlT_T0_E_clISt17integral_constantIbLb1EESU_EEDaSP_SQ_EUlSP_E0_NS1_11comp_targetILNS1_3genE4ELNS1_11target_archE910ELNS1_3gpuE8ELNS1_3repE0EEENS1_30default_config_static_selectorELNS0_4arch9wavefront6targetE0EEEvT1_: ; @_ZN7rocprim17ROCPRIM_400000_NS6detail17trampoline_kernelINS0_14default_configENS1_20scan_config_selectorIiEEZZNS1_9scan_implILNS1_25lookback_scan_determinismE0ELb0ELb0ES3_N6thrust23THRUST_200600_302600_NS6detail15normal_iteratorINS9_10device_ptrIiEEEESE_iNS9_4plusIvEEiEEDaPvRmT3_T4_T5_mT6_P12ihipStream_tbENKUlT_T0_E_clISt17integral_constantIbLb1EESU_EEDaSP_SQ_EUlSP_E0_NS1_11comp_targetILNS1_3genE4ELNS1_11target_archE910ELNS1_3gpuE8ELNS1_3repE0EEENS1_30default_config_static_selectorELNS0_4arch9wavefront6targetE0EEEvT1_
; %bb.0:
	.section	.rodata,"a",@progbits
	.p2align	6, 0x0
	.amdhsa_kernel _ZN7rocprim17ROCPRIM_400000_NS6detail17trampoline_kernelINS0_14default_configENS1_20scan_config_selectorIiEEZZNS1_9scan_implILNS1_25lookback_scan_determinismE0ELb0ELb0ES3_N6thrust23THRUST_200600_302600_NS6detail15normal_iteratorINS9_10device_ptrIiEEEESE_iNS9_4plusIvEEiEEDaPvRmT3_T4_T5_mT6_P12ihipStream_tbENKUlT_T0_E_clISt17integral_constantIbLb1EESU_EEDaSP_SQ_EUlSP_E0_NS1_11comp_targetILNS1_3genE4ELNS1_11target_archE910ELNS1_3gpuE8ELNS1_3repE0EEENS1_30default_config_static_selectorELNS0_4arch9wavefront6targetE0EEEvT1_
		.amdhsa_group_segment_fixed_size 0
		.amdhsa_private_segment_fixed_size 0
		.amdhsa_kernarg_size 32
		.amdhsa_user_sgpr_count 15
		.amdhsa_user_sgpr_dispatch_ptr 0
		.amdhsa_user_sgpr_queue_ptr 0
		.amdhsa_user_sgpr_kernarg_segment_ptr 1
		.amdhsa_user_sgpr_dispatch_id 0
		.amdhsa_user_sgpr_private_segment_size 0
		.amdhsa_wavefront_size32 1
		.amdhsa_uses_dynamic_stack 0
		.amdhsa_enable_private_segment 0
		.amdhsa_system_sgpr_workgroup_id_x 1
		.amdhsa_system_sgpr_workgroup_id_y 0
		.amdhsa_system_sgpr_workgroup_id_z 0
		.amdhsa_system_sgpr_workgroup_info 0
		.amdhsa_system_vgpr_workitem_id 0
		.amdhsa_next_free_vgpr 1
		.amdhsa_next_free_sgpr 1
		.amdhsa_reserve_vcc 0
		.amdhsa_float_round_mode_32 0
		.amdhsa_float_round_mode_16_64 0
		.amdhsa_float_denorm_mode_32 3
		.amdhsa_float_denorm_mode_16_64 3
		.amdhsa_dx10_clamp 1
		.amdhsa_ieee_mode 1
		.amdhsa_fp16_overflow 0
		.amdhsa_workgroup_processor_mode 1
		.amdhsa_memory_ordered 1
		.amdhsa_forward_progress 0
		.amdhsa_shared_vgpr_count 0
		.amdhsa_exception_fp_ieee_invalid_op 0
		.amdhsa_exception_fp_denorm_src 0
		.amdhsa_exception_fp_ieee_div_zero 0
		.amdhsa_exception_fp_ieee_overflow 0
		.amdhsa_exception_fp_ieee_underflow 0
		.amdhsa_exception_fp_ieee_inexact 0
		.amdhsa_exception_int_div_zero 0
	.end_amdhsa_kernel
	.section	.text._ZN7rocprim17ROCPRIM_400000_NS6detail17trampoline_kernelINS0_14default_configENS1_20scan_config_selectorIiEEZZNS1_9scan_implILNS1_25lookback_scan_determinismE0ELb0ELb0ES3_N6thrust23THRUST_200600_302600_NS6detail15normal_iteratorINS9_10device_ptrIiEEEESE_iNS9_4plusIvEEiEEDaPvRmT3_T4_T5_mT6_P12ihipStream_tbENKUlT_T0_E_clISt17integral_constantIbLb1EESU_EEDaSP_SQ_EUlSP_E0_NS1_11comp_targetILNS1_3genE4ELNS1_11target_archE910ELNS1_3gpuE8ELNS1_3repE0EEENS1_30default_config_static_selectorELNS0_4arch9wavefront6targetE0EEEvT1_,"axG",@progbits,_ZN7rocprim17ROCPRIM_400000_NS6detail17trampoline_kernelINS0_14default_configENS1_20scan_config_selectorIiEEZZNS1_9scan_implILNS1_25lookback_scan_determinismE0ELb0ELb0ES3_N6thrust23THRUST_200600_302600_NS6detail15normal_iteratorINS9_10device_ptrIiEEEESE_iNS9_4plusIvEEiEEDaPvRmT3_T4_T5_mT6_P12ihipStream_tbENKUlT_T0_E_clISt17integral_constantIbLb1EESU_EEDaSP_SQ_EUlSP_E0_NS1_11comp_targetILNS1_3genE4ELNS1_11target_archE910ELNS1_3gpuE8ELNS1_3repE0EEENS1_30default_config_static_selectorELNS0_4arch9wavefront6targetE0EEEvT1_,comdat
.Lfunc_end41:
	.size	_ZN7rocprim17ROCPRIM_400000_NS6detail17trampoline_kernelINS0_14default_configENS1_20scan_config_selectorIiEEZZNS1_9scan_implILNS1_25lookback_scan_determinismE0ELb0ELb0ES3_N6thrust23THRUST_200600_302600_NS6detail15normal_iteratorINS9_10device_ptrIiEEEESE_iNS9_4plusIvEEiEEDaPvRmT3_T4_T5_mT6_P12ihipStream_tbENKUlT_T0_E_clISt17integral_constantIbLb1EESU_EEDaSP_SQ_EUlSP_E0_NS1_11comp_targetILNS1_3genE4ELNS1_11target_archE910ELNS1_3gpuE8ELNS1_3repE0EEENS1_30default_config_static_selectorELNS0_4arch9wavefront6targetE0EEEvT1_, .Lfunc_end41-_ZN7rocprim17ROCPRIM_400000_NS6detail17trampoline_kernelINS0_14default_configENS1_20scan_config_selectorIiEEZZNS1_9scan_implILNS1_25lookback_scan_determinismE0ELb0ELb0ES3_N6thrust23THRUST_200600_302600_NS6detail15normal_iteratorINS9_10device_ptrIiEEEESE_iNS9_4plusIvEEiEEDaPvRmT3_T4_T5_mT6_P12ihipStream_tbENKUlT_T0_E_clISt17integral_constantIbLb1EESU_EEDaSP_SQ_EUlSP_E0_NS1_11comp_targetILNS1_3genE4ELNS1_11target_archE910ELNS1_3gpuE8ELNS1_3repE0EEENS1_30default_config_static_selectorELNS0_4arch9wavefront6targetE0EEEvT1_
                                        ; -- End function
	.section	.AMDGPU.csdata,"",@progbits
; Kernel info:
; codeLenInByte = 0
; NumSgprs: 0
; NumVgprs: 0
; ScratchSize: 0
; MemoryBound: 0
; FloatMode: 240
; IeeeMode: 1
; LDSByteSize: 0 bytes/workgroup (compile time only)
; SGPRBlocks: 0
; VGPRBlocks: 0
; NumSGPRsForWavesPerEU: 1
; NumVGPRsForWavesPerEU: 1
; Occupancy: 16
; WaveLimiterHint : 0
; COMPUTE_PGM_RSRC2:SCRATCH_EN: 0
; COMPUTE_PGM_RSRC2:USER_SGPR: 15
; COMPUTE_PGM_RSRC2:TRAP_HANDLER: 0
; COMPUTE_PGM_RSRC2:TGID_X_EN: 1
; COMPUTE_PGM_RSRC2:TGID_Y_EN: 0
; COMPUTE_PGM_RSRC2:TGID_Z_EN: 0
; COMPUTE_PGM_RSRC2:TIDIG_COMP_CNT: 0
	.section	.text._ZN7rocprim17ROCPRIM_400000_NS6detail17trampoline_kernelINS0_14default_configENS1_20scan_config_selectorIiEEZZNS1_9scan_implILNS1_25lookback_scan_determinismE0ELb0ELb0ES3_N6thrust23THRUST_200600_302600_NS6detail15normal_iteratorINS9_10device_ptrIiEEEESE_iNS9_4plusIvEEiEEDaPvRmT3_T4_T5_mT6_P12ihipStream_tbENKUlT_T0_E_clISt17integral_constantIbLb1EESU_EEDaSP_SQ_EUlSP_E0_NS1_11comp_targetILNS1_3genE3ELNS1_11target_archE908ELNS1_3gpuE7ELNS1_3repE0EEENS1_30default_config_static_selectorELNS0_4arch9wavefront6targetE0EEEvT1_,"axG",@progbits,_ZN7rocprim17ROCPRIM_400000_NS6detail17trampoline_kernelINS0_14default_configENS1_20scan_config_selectorIiEEZZNS1_9scan_implILNS1_25lookback_scan_determinismE0ELb0ELb0ES3_N6thrust23THRUST_200600_302600_NS6detail15normal_iteratorINS9_10device_ptrIiEEEESE_iNS9_4plusIvEEiEEDaPvRmT3_T4_T5_mT6_P12ihipStream_tbENKUlT_T0_E_clISt17integral_constantIbLb1EESU_EEDaSP_SQ_EUlSP_E0_NS1_11comp_targetILNS1_3genE3ELNS1_11target_archE908ELNS1_3gpuE7ELNS1_3repE0EEENS1_30default_config_static_selectorELNS0_4arch9wavefront6targetE0EEEvT1_,comdat
	.protected	_ZN7rocprim17ROCPRIM_400000_NS6detail17trampoline_kernelINS0_14default_configENS1_20scan_config_selectorIiEEZZNS1_9scan_implILNS1_25lookback_scan_determinismE0ELb0ELb0ES3_N6thrust23THRUST_200600_302600_NS6detail15normal_iteratorINS9_10device_ptrIiEEEESE_iNS9_4plusIvEEiEEDaPvRmT3_T4_T5_mT6_P12ihipStream_tbENKUlT_T0_E_clISt17integral_constantIbLb1EESU_EEDaSP_SQ_EUlSP_E0_NS1_11comp_targetILNS1_3genE3ELNS1_11target_archE908ELNS1_3gpuE7ELNS1_3repE0EEENS1_30default_config_static_selectorELNS0_4arch9wavefront6targetE0EEEvT1_ ; -- Begin function _ZN7rocprim17ROCPRIM_400000_NS6detail17trampoline_kernelINS0_14default_configENS1_20scan_config_selectorIiEEZZNS1_9scan_implILNS1_25lookback_scan_determinismE0ELb0ELb0ES3_N6thrust23THRUST_200600_302600_NS6detail15normal_iteratorINS9_10device_ptrIiEEEESE_iNS9_4plusIvEEiEEDaPvRmT3_T4_T5_mT6_P12ihipStream_tbENKUlT_T0_E_clISt17integral_constantIbLb1EESU_EEDaSP_SQ_EUlSP_E0_NS1_11comp_targetILNS1_3genE3ELNS1_11target_archE908ELNS1_3gpuE7ELNS1_3repE0EEENS1_30default_config_static_selectorELNS0_4arch9wavefront6targetE0EEEvT1_
	.globl	_ZN7rocprim17ROCPRIM_400000_NS6detail17trampoline_kernelINS0_14default_configENS1_20scan_config_selectorIiEEZZNS1_9scan_implILNS1_25lookback_scan_determinismE0ELb0ELb0ES3_N6thrust23THRUST_200600_302600_NS6detail15normal_iteratorINS9_10device_ptrIiEEEESE_iNS9_4plusIvEEiEEDaPvRmT3_T4_T5_mT6_P12ihipStream_tbENKUlT_T0_E_clISt17integral_constantIbLb1EESU_EEDaSP_SQ_EUlSP_E0_NS1_11comp_targetILNS1_3genE3ELNS1_11target_archE908ELNS1_3gpuE7ELNS1_3repE0EEENS1_30default_config_static_selectorELNS0_4arch9wavefront6targetE0EEEvT1_
	.p2align	8
	.type	_ZN7rocprim17ROCPRIM_400000_NS6detail17trampoline_kernelINS0_14default_configENS1_20scan_config_selectorIiEEZZNS1_9scan_implILNS1_25lookback_scan_determinismE0ELb0ELb0ES3_N6thrust23THRUST_200600_302600_NS6detail15normal_iteratorINS9_10device_ptrIiEEEESE_iNS9_4plusIvEEiEEDaPvRmT3_T4_T5_mT6_P12ihipStream_tbENKUlT_T0_E_clISt17integral_constantIbLb1EESU_EEDaSP_SQ_EUlSP_E0_NS1_11comp_targetILNS1_3genE3ELNS1_11target_archE908ELNS1_3gpuE7ELNS1_3repE0EEENS1_30default_config_static_selectorELNS0_4arch9wavefront6targetE0EEEvT1_,@function
_ZN7rocprim17ROCPRIM_400000_NS6detail17trampoline_kernelINS0_14default_configENS1_20scan_config_selectorIiEEZZNS1_9scan_implILNS1_25lookback_scan_determinismE0ELb0ELb0ES3_N6thrust23THRUST_200600_302600_NS6detail15normal_iteratorINS9_10device_ptrIiEEEESE_iNS9_4plusIvEEiEEDaPvRmT3_T4_T5_mT6_P12ihipStream_tbENKUlT_T0_E_clISt17integral_constantIbLb1EESU_EEDaSP_SQ_EUlSP_E0_NS1_11comp_targetILNS1_3genE3ELNS1_11target_archE908ELNS1_3gpuE7ELNS1_3repE0EEENS1_30default_config_static_selectorELNS0_4arch9wavefront6targetE0EEEvT1_: ; @_ZN7rocprim17ROCPRIM_400000_NS6detail17trampoline_kernelINS0_14default_configENS1_20scan_config_selectorIiEEZZNS1_9scan_implILNS1_25lookback_scan_determinismE0ELb0ELb0ES3_N6thrust23THRUST_200600_302600_NS6detail15normal_iteratorINS9_10device_ptrIiEEEESE_iNS9_4plusIvEEiEEDaPvRmT3_T4_T5_mT6_P12ihipStream_tbENKUlT_T0_E_clISt17integral_constantIbLb1EESU_EEDaSP_SQ_EUlSP_E0_NS1_11comp_targetILNS1_3genE3ELNS1_11target_archE908ELNS1_3gpuE7ELNS1_3repE0EEENS1_30default_config_static_selectorELNS0_4arch9wavefront6targetE0EEEvT1_
; %bb.0:
	.section	.rodata,"a",@progbits
	.p2align	6, 0x0
	.amdhsa_kernel _ZN7rocprim17ROCPRIM_400000_NS6detail17trampoline_kernelINS0_14default_configENS1_20scan_config_selectorIiEEZZNS1_9scan_implILNS1_25lookback_scan_determinismE0ELb0ELb0ES3_N6thrust23THRUST_200600_302600_NS6detail15normal_iteratorINS9_10device_ptrIiEEEESE_iNS9_4plusIvEEiEEDaPvRmT3_T4_T5_mT6_P12ihipStream_tbENKUlT_T0_E_clISt17integral_constantIbLb1EESU_EEDaSP_SQ_EUlSP_E0_NS1_11comp_targetILNS1_3genE3ELNS1_11target_archE908ELNS1_3gpuE7ELNS1_3repE0EEENS1_30default_config_static_selectorELNS0_4arch9wavefront6targetE0EEEvT1_
		.amdhsa_group_segment_fixed_size 0
		.amdhsa_private_segment_fixed_size 0
		.amdhsa_kernarg_size 32
		.amdhsa_user_sgpr_count 15
		.amdhsa_user_sgpr_dispatch_ptr 0
		.amdhsa_user_sgpr_queue_ptr 0
		.amdhsa_user_sgpr_kernarg_segment_ptr 1
		.amdhsa_user_sgpr_dispatch_id 0
		.amdhsa_user_sgpr_private_segment_size 0
		.amdhsa_wavefront_size32 1
		.amdhsa_uses_dynamic_stack 0
		.amdhsa_enable_private_segment 0
		.amdhsa_system_sgpr_workgroup_id_x 1
		.amdhsa_system_sgpr_workgroup_id_y 0
		.amdhsa_system_sgpr_workgroup_id_z 0
		.amdhsa_system_sgpr_workgroup_info 0
		.amdhsa_system_vgpr_workitem_id 0
		.amdhsa_next_free_vgpr 1
		.amdhsa_next_free_sgpr 1
		.amdhsa_reserve_vcc 0
		.amdhsa_float_round_mode_32 0
		.amdhsa_float_round_mode_16_64 0
		.amdhsa_float_denorm_mode_32 3
		.amdhsa_float_denorm_mode_16_64 3
		.amdhsa_dx10_clamp 1
		.amdhsa_ieee_mode 1
		.amdhsa_fp16_overflow 0
		.amdhsa_workgroup_processor_mode 1
		.amdhsa_memory_ordered 1
		.amdhsa_forward_progress 0
		.amdhsa_shared_vgpr_count 0
		.amdhsa_exception_fp_ieee_invalid_op 0
		.amdhsa_exception_fp_denorm_src 0
		.amdhsa_exception_fp_ieee_div_zero 0
		.amdhsa_exception_fp_ieee_overflow 0
		.amdhsa_exception_fp_ieee_underflow 0
		.amdhsa_exception_fp_ieee_inexact 0
		.amdhsa_exception_int_div_zero 0
	.end_amdhsa_kernel
	.section	.text._ZN7rocprim17ROCPRIM_400000_NS6detail17trampoline_kernelINS0_14default_configENS1_20scan_config_selectorIiEEZZNS1_9scan_implILNS1_25lookback_scan_determinismE0ELb0ELb0ES3_N6thrust23THRUST_200600_302600_NS6detail15normal_iteratorINS9_10device_ptrIiEEEESE_iNS9_4plusIvEEiEEDaPvRmT3_T4_T5_mT6_P12ihipStream_tbENKUlT_T0_E_clISt17integral_constantIbLb1EESU_EEDaSP_SQ_EUlSP_E0_NS1_11comp_targetILNS1_3genE3ELNS1_11target_archE908ELNS1_3gpuE7ELNS1_3repE0EEENS1_30default_config_static_selectorELNS0_4arch9wavefront6targetE0EEEvT1_,"axG",@progbits,_ZN7rocprim17ROCPRIM_400000_NS6detail17trampoline_kernelINS0_14default_configENS1_20scan_config_selectorIiEEZZNS1_9scan_implILNS1_25lookback_scan_determinismE0ELb0ELb0ES3_N6thrust23THRUST_200600_302600_NS6detail15normal_iteratorINS9_10device_ptrIiEEEESE_iNS9_4plusIvEEiEEDaPvRmT3_T4_T5_mT6_P12ihipStream_tbENKUlT_T0_E_clISt17integral_constantIbLb1EESU_EEDaSP_SQ_EUlSP_E0_NS1_11comp_targetILNS1_3genE3ELNS1_11target_archE908ELNS1_3gpuE7ELNS1_3repE0EEENS1_30default_config_static_selectorELNS0_4arch9wavefront6targetE0EEEvT1_,comdat
.Lfunc_end42:
	.size	_ZN7rocprim17ROCPRIM_400000_NS6detail17trampoline_kernelINS0_14default_configENS1_20scan_config_selectorIiEEZZNS1_9scan_implILNS1_25lookback_scan_determinismE0ELb0ELb0ES3_N6thrust23THRUST_200600_302600_NS6detail15normal_iteratorINS9_10device_ptrIiEEEESE_iNS9_4plusIvEEiEEDaPvRmT3_T4_T5_mT6_P12ihipStream_tbENKUlT_T0_E_clISt17integral_constantIbLb1EESU_EEDaSP_SQ_EUlSP_E0_NS1_11comp_targetILNS1_3genE3ELNS1_11target_archE908ELNS1_3gpuE7ELNS1_3repE0EEENS1_30default_config_static_selectorELNS0_4arch9wavefront6targetE0EEEvT1_, .Lfunc_end42-_ZN7rocprim17ROCPRIM_400000_NS6detail17trampoline_kernelINS0_14default_configENS1_20scan_config_selectorIiEEZZNS1_9scan_implILNS1_25lookback_scan_determinismE0ELb0ELb0ES3_N6thrust23THRUST_200600_302600_NS6detail15normal_iteratorINS9_10device_ptrIiEEEESE_iNS9_4plusIvEEiEEDaPvRmT3_T4_T5_mT6_P12ihipStream_tbENKUlT_T0_E_clISt17integral_constantIbLb1EESU_EEDaSP_SQ_EUlSP_E0_NS1_11comp_targetILNS1_3genE3ELNS1_11target_archE908ELNS1_3gpuE7ELNS1_3repE0EEENS1_30default_config_static_selectorELNS0_4arch9wavefront6targetE0EEEvT1_
                                        ; -- End function
	.section	.AMDGPU.csdata,"",@progbits
; Kernel info:
; codeLenInByte = 0
; NumSgprs: 0
; NumVgprs: 0
; ScratchSize: 0
; MemoryBound: 0
; FloatMode: 240
; IeeeMode: 1
; LDSByteSize: 0 bytes/workgroup (compile time only)
; SGPRBlocks: 0
; VGPRBlocks: 0
; NumSGPRsForWavesPerEU: 1
; NumVGPRsForWavesPerEU: 1
; Occupancy: 16
; WaveLimiterHint : 0
; COMPUTE_PGM_RSRC2:SCRATCH_EN: 0
; COMPUTE_PGM_RSRC2:USER_SGPR: 15
; COMPUTE_PGM_RSRC2:TRAP_HANDLER: 0
; COMPUTE_PGM_RSRC2:TGID_X_EN: 1
; COMPUTE_PGM_RSRC2:TGID_Y_EN: 0
; COMPUTE_PGM_RSRC2:TGID_Z_EN: 0
; COMPUTE_PGM_RSRC2:TIDIG_COMP_CNT: 0
	.section	.text._ZN7rocprim17ROCPRIM_400000_NS6detail17trampoline_kernelINS0_14default_configENS1_20scan_config_selectorIiEEZZNS1_9scan_implILNS1_25lookback_scan_determinismE0ELb0ELb0ES3_N6thrust23THRUST_200600_302600_NS6detail15normal_iteratorINS9_10device_ptrIiEEEESE_iNS9_4plusIvEEiEEDaPvRmT3_T4_T5_mT6_P12ihipStream_tbENKUlT_T0_E_clISt17integral_constantIbLb1EESU_EEDaSP_SQ_EUlSP_E0_NS1_11comp_targetILNS1_3genE2ELNS1_11target_archE906ELNS1_3gpuE6ELNS1_3repE0EEENS1_30default_config_static_selectorELNS0_4arch9wavefront6targetE0EEEvT1_,"axG",@progbits,_ZN7rocprim17ROCPRIM_400000_NS6detail17trampoline_kernelINS0_14default_configENS1_20scan_config_selectorIiEEZZNS1_9scan_implILNS1_25lookback_scan_determinismE0ELb0ELb0ES3_N6thrust23THRUST_200600_302600_NS6detail15normal_iteratorINS9_10device_ptrIiEEEESE_iNS9_4plusIvEEiEEDaPvRmT3_T4_T5_mT6_P12ihipStream_tbENKUlT_T0_E_clISt17integral_constantIbLb1EESU_EEDaSP_SQ_EUlSP_E0_NS1_11comp_targetILNS1_3genE2ELNS1_11target_archE906ELNS1_3gpuE6ELNS1_3repE0EEENS1_30default_config_static_selectorELNS0_4arch9wavefront6targetE0EEEvT1_,comdat
	.protected	_ZN7rocprim17ROCPRIM_400000_NS6detail17trampoline_kernelINS0_14default_configENS1_20scan_config_selectorIiEEZZNS1_9scan_implILNS1_25lookback_scan_determinismE0ELb0ELb0ES3_N6thrust23THRUST_200600_302600_NS6detail15normal_iteratorINS9_10device_ptrIiEEEESE_iNS9_4plusIvEEiEEDaPvRmT3_T4_T5_mT6_P12ihipStream_tbENKUlT_T0_E_clISt17integral_constantIbLb1EESU_EEDaSP_SQ_EUlSP_E0_NS1_11comp_targetILNS1_3genE2ELNS1_11target_archE906ELNS1_3gpuE6ELNS1_3repE0EEENS1_30default_config_static_selectorELNS0_4arch9wavefront6targetE0EEEvT1_ ; -- Begin function _ZN7rocprim17ROCPRIM_400000_NS6detail17trampoline_kernelINS0_14default_configENS1_20scan_config_selectorIiEEZZNS1_9scan_implILNS1_25lookback_scan_determinismE0ELb0ELb0ES3_N6thrust23THRUST_200600_302600_NS6detail15normal_iteratorINS9_10device_ptrIiEEEESE_iNS9_4plusIvEEiEEDaPvRmT3_T4_T5_mT6_P12ihipStream_tbENKUlT_T0_E_clISt17integral_constantIbLb1EESU_EEDaSP_SQ_EUlSP_E0_NS1_11comp_targetILNS1_3genE2ELNS1_11target_archE906ELNS1_3gpuE6ELNS1_3repE0EEENS1_30default_config_static_selectorELNS0_4arch9wavefront6targetE0EEEvT1_
	.globl	_ZN7rocprim17ROCPRIM_400000_NS6detail17trampoline_kernelINS0_14default_configENS1_20scan_config_selectorIiEEZZNS1_9scan_implILNS1_25lookback_scan_determinismE0ELb0ELb0ES3_N6thrust23THRUST_200600_302600_NS6detail15normal_iteratorINS9_10device_ptrIiEEEESE_iNS9_4plusIvEEiEEDaPvRmT3_T4_T5_mT6_P12ihipStream_tbENKUlT_T0_E_clISt17integral_constantIbLb1EESU_EEDaSP_SQ_EUlSP_E0_NS1_11comp_targetILNS1_3genE2ELNS1_11target_archE906ELNS1_3gpuE6ELNS1_3repE0EEENS1_30default_config_static_selectorELNS0_4arch9wavefront6targetE0EEEvT1_
	.p2align	8
	.type	_ZN7rocprim17ROCPRIM_400000_NS6detail17trampoline_kernelINS0_14default_configENS1_20scan_config_selectorIiEEZZNS1_9scan_implILNS1_25lookback_scan_determinismE0ELb0ELb0ES3_N6thrust23THRUST_200600_302600_NS6detail15normal_iteratorINS9_10device_ptrIiEEEESE_iNS9_4plusIvEEiEEDaPvRmT3_T4_T5_mT6_P12ihipStream_tbENKUlT_T0_E_clISt17integral_constantIbLb1EESU_EEDaSP_SQ_EUlSP_E0_NS1_11comp_targetILNS1_3genE2ELNS1_11target_archE906ELNS1_3gpuE6ELNS1_3repE0EEENS1_30default_config_static_selectorELNS0_4arch9wavefront6targetE0EEEvT1_,@function
_ZN7rocprim17ROCPRIM_400000_NS6detail17trampoline_kernelINS0_14default_configENS1_20scan_config_selectorIiEEZZNS1_9scan_implILNS1_25lookback_scan_determinismE0ELb0ELb0ES3_N6thrust23THRUST_200600_302600_NS6detail15normal_iteratorINS9_10device_ptrIiEEEESE_iNS9_4plusIvEEiEEDaPvRmT3_T4_T5_mT6_P12ihipStream_tbENKUlT_T0_E_clISt17integral_constantIbLb1EESU_EEDaSP_SQ_EUlSP_E0_NS1_11comp_targetILNS1_3genE2ELNS1_11target_archE906ELNS1_3gpuE6ELNS1_3repE0EEENS1_30default_config_static_selectorELNS0_4arch9wavefront6targetE0EEEvT1_: ; @_ZN7rocprim17ROCPRIM_400000_NS6detail17trampoline_kernelINS0_14default_configENS1_20scan_config_selectorIiEEZZNS1_9scan_implILNS1_25lookback_scan_determinismE0ELb0ELb0ES3_N6thrust23THRUST_200600_302600_NS6detail15normal_iteratorINS9_10device_ptrIiEEEESE_iNS9_4plusIvEEiEEDaPvRmT3_T4_T5_mT6_P12ihipStream_tbENKUlT_T0_E_clISt17integral_constantIbLb1EESU_EEDaSP_SQ_EUlSP_E0_NS1_11comp_targetILNS1_3genE2ELNS1_11target_archE906ELNS1_3gpuE6ELNS1_3repE0EEENS1_30default_config_static_selectorELNS0_4arch9wavefront6targetE0EEEvT1_
; %bb.0:
	.section	.rodata,"a",@progbits
	.p2align	6, 0x0
	.amdhsa_kernel _ZN7rocprim17ROCPRIM_400000_NS6detail17trampoline_kernelINS0_14default_configENS1_20scan_config_selectorIiEEZZNS1_9scan_implILNS1_25lookback_scan_determinismE0ELb0ELb0ES3_N6thrust23THRUST_200600_302600_NS6detail15normal_iteratorINS9_10device_ptrIiEEEESE_iNS9_4plusIvEEiEEDaPvRmT3_T4_T5_mT6_P12ihipStream_tbENKUlT_T0_E_clISt17integral_constantIbLb1EESU_EEDaSP_SQ_EUlSP_E0_NS1_11comp_targetILNS1_3genE2ELNS1_11target_archE906ELNS1_3gpuE6ELNS1_3repE0EEENS1_30default_config_static_selectorELNS0_4arch9wavefront6targetE0EEEvT1_
		.amdhsa_group_segment_fixed_size 0
		.amdhsa_private_segment_fixed_size 0
		.amdhsa_kernarg_size 32
		.amdhsa_user_sgpr_count 15
		.amdhsa_user_sgpr_dispatch_ptr 0
		.amdhsa_user_sgpr_queue_ptr 0
		.amdhsa_user_sgpr_kernarg_segment_ptr 1
		.amdhsa_user_sgpr_dispatch_id 0
		.amdhsa_user_sgpr_private_segment_size 0
		.amdhsa_wavefront_size32 1
		.amdhsa_uses_dynamic_stack 0
		.amdhsa_enable_private_segment 0
		.amdhsa_system_sgpr_workgroup_id_x 1
		.amdhsa_system_sgpr_workgroup_id_y 0
		.amdhsa_system_sgpr_workgroup_id_z 0
		.amdhsa_system_sgpr_workgroup_info 0
		.amdhsa_system_vgpr_workitem_id 0
		.amdhsa_next_free_vgpr 1
		.amdhsa_next_free_sgpr 1
		.amdhsa_reserve_vcc 0
		.amdhsa_float_round_mode_32 0
		.amdhsa_float_round_mode_16_64 0
		.amdhsa_float_denorm_mode_32 3
		.amdhsa_float_denorm_mode_16_64 3
		.amdhsa_dx10_clamp 1
		.amdhsa_ieee_mode 1
		.amdhsa_fp16_overflow 0
		.amdhsa_workgroup_processor_mode 1
		.amdhsa_memory_ordered 1
		.amdhsa_forward_progress 0
		.amdhsa_shared_vgpr_count 0
		.amdhsa_exception_fp_ieee_invalid_op 0
		.amdhsa_exception_fp_denorm_src 0
		.amdhsa_exception_fp_ieee_div_zero 0
		.amdhsa_exception_fp_ieee_overflow 0
		.amdhsa_exception_fp_ieee_underflow 0
		.amdhsa_exception_fp_ieee_inexact 0
		.amdhsa_exception_int_div_zero 0
	.end_amdhsa_kernel
	.section	.text._ZN7rocprim17ROCPRIM_400000_NS6detail17trampoline_kernelINS0_14default_configENS1_20scan_config_selectorIiEEZZNS1_9scan_implILNS1_25lookback_scan_determinismE0ELb0ELb0ES3_N6thrust23THRUST_200600_302600_NS6detail15normal_iteratorINS9_10device_ptrIiEEEESE_iNS9_4plusIvEEiEEDaPvRmT3_T4_T5_mT6_P12ihipStream_tbENKUlT_T0_E_clISt17integral_constantIbLb1EESU_EEDaSP_SQ_EUlSP_E0_NS1_11comp_targetILNS1_3genE2ELNS1_11target_archE906ELNS1_3gpuE6ELNS1_3repE0EEENS1_30default_config_static_selectorELNS0_4arch9wavefront6targetE0EEEvT1_,"axG",@progbits,_ZN7rocprim17ROCPRIM_400000_NS6detail17trampoline_kernelINS0_14default_configENS1_20scan_config_selectorIiEEZZNS1_9scan_implILNS1_25lookback_scan_determinismE0ELb0ELb0ES3_N6thrust23THRUST_200600_302600_NS6detail15normal_iteratorINS9_10device_ptrIiEEEESE_iNS9_4plusIvEEiEEDaPvRmT3_T4_T5_mT6_P12ihipStream_tbENKUlT_T0_E_clISt17integral_constantIbLb1EESU_EEDaSP_SQ_EUlSP_E0_NS1_11comp_targetILNS1_3genE2ELNS1_11target_archE906ELNS1_3gpuE6ELNS1_3repE0EEENS1_30default_config_static_selectorELNS0_4arch9wavefront6targetE0EEEvT1_,comdat
.Lfunc_end43:
	.size	_ZN7rocprim17ROCPRIM_400000_NS6detail17trampoline_kernelINS0_14default_configENS1_20scan_config_selectorIiEEZZNS1_9scan_implILNS1_25lookback_scan_determinismE0ELb0ELb0ES3_N6thrust23THRUST_200600_302600_NS6detail15normal_iteratorINS9_10device_ptrIiEEEESE_iNS9_4plusIvEEiEEDaPvRmT3_T4_T5_mT6_P12ihipStream_tbENKUlT_T0_E_clISt17integral_constantIbLb1EESU_EEDaSP_SQ_EUlSP_E0_NS1_11comp_targetILNS1_3genE2ELNS1_11target_archE906ELNS1_3gpuE6ELNS1_3repE0EEENS1_30default_config_static_selectorELNS0_4arch9wavefront6targetE0EEEvT1_, .Lfunc_end43-_ZN7rocprim17ROCPRIM_400000_NS6detail17trampoline_kernelINS0_14default_configENS1_20scan_config_selectorIiEEZZNS1_9scan_implILNS1_25lookback_scan_determinismE0ELb0ELb0ES3_N6thrust23THRUST_200600_302600_NS6detail15normal_iteratorINS9_10device_ptrIiEEEESE_iNS9_4plusIvEEiEEDaPvRmT3_T4_T5_mT6_P12ihipStream_tbENKUlT_T0_E_clISt17integral_constantIbLb1EESU_EEDaSP_SQ_EUlSP_E0_NS1_11comp_targetILNS1_3genE2ELNS1_11target_archE906ELNS1_3gpuE6ELNS1_3repE0EEENS1_30default_config_static_selectorELNS0_4arch9wavefront6targetE0EEEvT1_
                                        ; -- End function
	.section	.AMDGPU.csdata,"",@progbits
; Kernel info:
; codeLenInByte = 0
; NumSgprs: 0
; NumVgprs: 0
; ScratchSize: 0
; MemoryBound: 0
; FloatMode: 240
; IeeeMode: 1
; LDSByteSize: 0 bytes/workgroup (compile time only)
; SGPRBlocks: 0
; VGPRBlocks: 0
; NumSGPRsForWavesPerEU: 1
; NumVGPRsForWavesPerEU: 1
; Occupancy: 16
; WaveLimiterHint : 0
; COMPUTE_PGM_RSRC2:SCRATCH_EN: 0
; COMPUTE_PGM_RSRC2:USER_SGPR: 15
; COMPUTE_PGM_RSRC2:TRAP_HANDLER: 0
; COMPUTE_PGM_RSRC2:TGID_X_EN: 1
; COMPUTE_PGM_RSRC2:TGID_Y_EN: 0
; COMPUTE_PGM_RSRC2:TGID_Z_EN: 0
; COMPUTE_PGM_RSRC2:TIDIG_COMP_CNT: 0
	.section	.text._ZN7rocprim17ROCPRIM_400000_NS6detail17trampoline_kernelINS0_14default_configENS1_20scan_config_selectorIiEEZZNS1_9scan_implILNS1_25lookback_scan_determinismE0ELb0ELb0ES3_N6thrust23THRUST_200600_302600_NS6detail15normal_iteratorINS9_10device_ptrIiEEEESE_iNS9_4plusIvEEiEEDaPvRmT3_T4_T5_mT6_P12ihipStream_tbENKUlT_T0_E_clISt17integral_constantIbLb1EESU_EEDaSP_SQ_EUlSP_E0_NS1_11comp_targetILNS1_3genE10ELNS1_11target_archE1201ELNS1_3gpuE5ELNS1_3repE0EEENS1_30default_config_static_selectorELNS0_4arch9wavefront6targetE0EEEvT1_,"axG",@progbits,_ZN7rocprim17ROCPRIM_400000_NS6detail17trampoline_kernelINS0_14default_configENS1_20scan_config_selectorIiEEZZNS1_9scan_implILNS1_25lookback_scan_determinismE0ELb0ELb0ES3_N6thrust23THRUST_200600_302600_NS6detail15normal_iteratorINS9_10device_ptrIiEEEESE_iNS9_4plusIvEEiEEDaPvRmT3_T4_T5_mT6_P12ihipStream_tbENKUlT_T0_E_clISt17integral_constantIbLb1EESU_EEDaSP_SQ_EUlSP_E0_NS1_11comp_targetILNS1_3genE10ELNS1_11target_archE1201ELNS1_3gpuE5ELNS1_3repE0EEENS1_30default_config_static_selectorELNS0_4arch9wavefront6targetE0EEEvT1_,comdat
	.protected	_ZN7rocprim17ROCPRIM_400000_NS6detail17trampoline_kernelINS0_14default_configENS1_20scan_config_selectorIiEEZZNS1_9scan_implILNS1_25lookback_scan_determinismE0ELb0ELb0ES3_N6thrust23THRUST_200600_302600_NS6detail15normal_iteratorINS9_10device_ptrIiEEEESE_iNS9_4plusIvEEiEEDaPvRmT3_T4_T5_mT6_P12ihipStream_tbENKUlT_T0_E_clISt17integral_constantIbLb1EESU_EEDaSP_SQ_EUlSP_E0_NS1_11comp_targetILNS1_3genE10ELNS1_11target_archE1201ELNS1_3gpuE5ELNS1_3repE0EEENS1_30default_config_static_selectorELNS0_4arch9wavefront6targetE0EEEvT1_ ; -- Begin function _ZN7rocprim17ROCPRIM_400000_NS6detail17trampoline_kernelINS0_14default_configENS1_20scan_config_selectorIiEEZZNS1_9scan_implILNS1_25lookback_scan_determinismE0ELb0ELb0ES3_N6thrust23THRUST_200600_302600_NS6detail15normal_iteratorINS9_10device_ptrIiEEEESE_iNS9_4plusIvEEiEEDaPvRmT3_T4_T5_mT6_P12ihipStream_tbENKUlT_T0_E_clISt17integral_constantIbLb1EESU_EEDaSP_SQ_EUlSP_E0_NS1_11comp_targetILNS1_3genE10ELNS1_11target_archE1201ELNS1_3gpuE5ELNS1_3repE0EEENS1_30default_config_static_selectorELNS0_4arch9wavefront6targetE0EEEvT1_
	.globl	_ZN7rocprim17ROCPRIM_400000_NS6detail17trampoline_kernelINS0_14default_configENS1_20scan_config_selectorIiEEZZNS1_9scan_implILNS1_25lookback_scan_determinismE0ELb0ELb0ES3_N6thrust23THRUST_200600_302600_NS6detail15normal_iteratorINS9_10device_ptrIiEEEESE_iNS9_4plusIvEEiEEDaPvRmT3_T4_T5_mT6_P12ihipStream_tbENKUlT_T0_E_clISt17integral_constantIbLb1EESU_EEDaSP_SQ_EUlSP_E0_NS1_11comp_targetILNS1_3genE10ELNS1_11target_archE1201ELNS1_3gpuE5ELNS1_3repE0EEENS1_30default_config_static_selectorELNS0_4arch9wavefront6targetE0EEEvT1_
	.p2align	8
	.type	_ZN7rocprim17ROCPRIM_400000_NS6detail17trampoline_kernelINS0_14default_configENS1_20scan_config_selectorIiEEZZNS1_9scan_implILNS1_25lookback_scan_determinismE0ELb0ELb0ES3_N6thrust23THRUST_200600_302600_NS6detail15normal_iteratorINS9_10device_ptrIiEEEESE_iNS9_4plusIvEEiEEDaPvRmT3_T4_T5_mT6_P12ihipStream_tbENKUlT_T0_E_clISt17integral_constantIbLb1EESU_EEDaSP_SQ_EUlSP_E0_NS1_11comp_targetILNS1_3genE10ELNS1_11target_archE1201ELNS1_3gpuE5ELNS1_3repE0EEENS1_30default_config_static_selectorELNS0_4arch9wavefront6targetE0EEEvT1_,@function
_ZN7rocprim17ROCPRIM_400000_NS6detail17trampoline_kernelINS0_14default_configENS1_20scan_config_selectorIiEEZZNS1_9scan_implILNS1_25lookback_scan_determinismE0ELb0ELb0ES3_N6thrust23THRUST_200600_302600_NS6detail15normal_iteratorINS9_10device_ptrIiEEEESE_iNS9_4plusIvEEiEEDaPvRmT3_T4_T5_mT6_P12ihipStream_tbENKUlT_T0_E_clISt17integral_constantIbLb1EESU_EEDaSP_SQ_EUlSP_E0_NS1_11comp_targetILNS1_3genE10ELNS1_11target_archE1201ELNS1_3gpuE5ELNS1_3repE0EEENS1_30default_config_static_selectorELNS0_4arch9wavefront6targetE0EEEvT1_: ; @_ZN7rocprim17ROCPRIM_400000_NS6detail17trampoline_kernelINS0_14default_configENS1_20scan_config_selectorIiEEZZNS1_9scan_implILNS1_25lookback_scan_determinismE0ELb0ELb0ES3_N6thrust23THRUST_200600_302600_NS6detail15normal_iteratorINS9_10device_ptrIiEEEESE_iNS9_4plusIvEEiEEDaPvRmT3_T4_T5_mT6_P12ihipStream_tbENKUlT_T0_E_clISt17integral_constantIbLb1EESU_EEDaSP_SQ_EUlSP_E0_NS1_11comp_targetILNS1_3genE10ELNS1_11target_archE1201ELNS1_3gpuE5ELNS1_3repE0EEENS1_30default_config_static_selectorELNS0_4arch9wavefront6targetE0EEEvT1_
; %bb.0:
	.section	.rodata,"a",@progbits
	.p2align	6, 0x0
	.amdhsa_kernel _ZN7rocprim17ROCPRIM_400000_NS6detail17trampoline_kernelINS0_14default_configENS1_20scan_config_selectorIiEEZZNS1_9scan_implILNS1_25lookback_scan_determinismE0ELb0ELb0ES3_N6thrust23THRUST_200600_302600_NS6detail15normal_iteratorINS9_10device_ptrIiEEEESE_iNS9_4plusIvEEiEEDaPvRmT3_T4_T5_mT6_P12ihipStream_tbENKUlT_T0_E_clISt17integral_constantIbLb1EESU_EEDaSP_SQ_EUlSP_E0_NS1_11comp_targetILNS1_3genE10ELNS1_11target_archE1201ELNS1_3gpuE5ELNS1_3repE0EEENS1_30default_config_static_selectorELNS0_4arch9wavefront6targetE0EEEvT1_
		.amdhsa_group_segment_fixed_size 0
		.amdhsa_private_segment_fixed_size 0
		.amdhsa_kernarg_size 32
		.amdhsa_user_sgpr_count 15
		.amdhsa_user_sgpr_dispatch_ptr 0
		.amdhsa_user_sgpr_queue_ptr 0
		.amdhsa_user_sgpr_kernarg_segment_ptr 1
		.amdhsa_user_sgpr_dispatch_id 0
		.amdhsa_user_sgpr_private_segment_size 0
		.amdhsa_wavefront_size32 1
		.amdhsa_uses_dynamic_stack 0
		.amdhsa_enable_private_segment 0
		.amdhsa_system_sgpr_workgroup_id_x 1
		.amdhsa_system_sgpr_workgroup_id_y 0
		.amdhsa_system_sgpr_workgroup_id_z 0
		.amdhsa_system_sgpr_workgroup_info 0
		.amdhsa_system_vgpr_workitem_id 0
		.amdhsa_next_free_vgpr 1
		.amdhsa_next_free_sgpr 1
		.amdhsa_reserve_vcc 0
		.amdhsa_float_round_mode_32 0
		.amdhsa_float_round_mode_16_64 0
		.amdhsa_float_denorm_mode_32 3
		.amdhsa_float_denorm_mode_16_64 3
		.amdhsa_dx10_clamp 1
		.amdhsa_ieee_mode 1
		.amdhsa_fp16_overflow 0
		.amdhsa_workgroup_processor_mode 1
		.amdhsa_memory_ordered 1
		.amdhsa_forward_progress 0
		.amdhsa_shared_vgpr_count 0
		.amdhsa_exception_fp_ieee_invalid_op 0
		.amdhsa_exception_fp_denorm_src 0
		.amdhsa_exception_fp_ieee_div_zero 0
		.amdhsa_exception_fp_ieee_overflow 0
		.amdhsa_exception_fp_ieee_underflow 0
		.amdhsa_exception_fp_ieee_inexact 0
		.amdhsa_exception_int_div_zero 0
	.end_amdhsa_kernel
	.section	.text._ZN7rocprim17ROCPRIM_400000_NS6detail17trampoline_kernelINS0_14default_configENS1_20scan_config_selectorIiEEZZNS1_9scan_implILNS1_25lookback_scan_determinismE0ELb0ELb0ES3_N6thrust23THRUST_200600_302600_NS6detail15normal_iteratorINS9_10device_ptrIiEEEESE_iNS9_4plusIvEEiEEDaPvRmT3_T4_T5_mT6_P12ihipStream_tbENKUlT_T0_E_clISt17integral_constantIbLb1EESU_EEDaSP_SQ_EUlSP_E0_NS1_11comp_targetILNS1_3genE10ELNS1_11target_archE1201ELNS1_3gpuE5ELNS1_3repE0EEENS1_30default_config_static_selectorELNS0_4arch9wavefront6targetE0EEEvT1_,"axG",@progbits,_ZN7rocprim17ROCPRIM_400000_NS6detail17trampoline_kernelINS0_14default_configENS1_20scan_config_selectorIiEEZZNS1_9scan_implILNS1_25lookback_scan_determinismE0ELb0ELb0ES3_N6thrust23THRUST_200600_302600_NS6detail15normal_iteratorINS9_10device_ptrIiEEEESE_iNS9_4plusIvEEiEEDaPvRmT3_T4_T5_mT6_P12ihipStream_tbENKUlT_T0_E_clISt17integral_constantIbLb1EESU_EEDaSP_SQ_EUlSP_E0_NS1_11comp_targetILNS1_3genE10ELNS1_11target_archE1201ELNS1_3gpuE5ELNS1_3repE0EEENS1_30default_config_static_selectorELNS0_4arch9wavefront6targetE0EEEvT1_,comdat
.Lfunc_end44:
	.size	_ZN7rocprim17ROCPRIM_400000_NS6detail17trampoline_kernelINS0_14default_configENS1_20scan_config_selectorIiEEZZNS1_9scan_implILNS1_25lookback_scan_determinismE0ELb0ELb0ES3_N6thrust23THRUST_200600_302600_NS6detail15normal_iteratorINS9_10device_ptrIiEEEESE_iNS9_4plusIvEEiEEDaPvRmT3_T4_T5_mT6_P12ihipStream_tbENKUlT_T0_E_clISt17integral_constantIbLb1EESU_EEDaSP_SQ_EUlSP_E0_NS1_11comp_targetILNS1_3genE10ELNS1_11target_archE1201ELNS1_3gpuE5ELNS1_3repE0EEENS1_30default_config_static_selectorELNS0_4arch9wavefront6targetE0EEEvT1_, .Lfunc_end44-_ZN7rocprim17ROCPRIM_400000_NS6detail17trampoline_kernelINS0_14default_configENS1_20scan_config_selectorIiEEZZNS1_9scan_implILNS1_25lookback_scan_determinismE0ELb0ELb0ES3_N6thrust23THRUST_200600_302600_NS6detail15normal_iteratorINS9_10device_ptrIiEEEESE_iNS9_4plusIvEEiEEDaPvRmT3_T4_T5_mT6_P12ihipStream_tbENKUlT_T0_E_clISt17integral_constantIbLb1EESU_EEDaSP_SQ_EUlSP_E0_NS1_11comp_targetILNS1_3genE10ELNS1_11target_archE1201ELNS1_3gpuE5ELNS1_3repE0EEENS1_30default_config_static_selectorELNS0_4arch9wavefront6targetE0EEEvT1_
                                        ; -- End function
	.section	.AMDGPU.csdata,"",@progbits
; Kernel info:
; codeLenInByte = 0
; NumSgprs: 0
; NumVgprs: 0
; ScratchSize: 0
; MemoryBound: 0
; FloatMode: 240
; IeeeMode: 1
; LDSByteSize: 0 bytes/workgroup (compile time only)
; SGPRBlocks: 0
; VGPRBlocks: 0
; NumSGPRsForWavesPerEU: 1
; NumVGPRsForWavesPerEU: 1
; Occupancy: 16
; WaveLimiterHint : 0
; COMPUTE_PGM_RSRC2:SCRATCH_EN: 0
; COMPUTE_PGM_RSRC2:USER_SGPR: 15
; COMPUTE_PGM_RSRC2:TRAP_HANDLER: 0
; COMPUTE_PGM_RSRC2:TGID_X_EN: 1
; COMPUTE_PGM_RSRC2:TGID_Y_EN: 0
; COMPUTE_PGM_RSRC2:TGID_Z_EN: 0
; COMPUTE_PGM_RSRC2:TIDIG_COMP_CNT: 0
	.section	.text._ZN7rocprim17ROCPRIM_400000_NS6detail17trampoline_kernelINS0_14default_configENS1_20scan_config_selectorIiEEZZNS1_9scan_implILNS1_25lookback_scan_determinismE0ELb0ELb0ES3_N6thrust23THRUST_200600_302600_NS6detail15normal_iteratorINS9_10device_ptrIiEEEESE_iNS9_4plusIvEEiEEDaPvRmT3_T4_T5_mT6_P12ihipStream_tbENKUlT_T0_E_clISt17integral_constantIbLb1EESU_EEDaSP_SQ_EUlSP_E0_NS1_11comp_targetILNS1_3genE10ELNS1_11target_archE1200ELNS1_3gpuE4ELNS1_3repE0EEENS1_30default_config_static_selectorELNS0_4arch9wavefront6targetE0EEEvT1_,"axG",@progbits,_ZN7rocprim17ROCPRIM_400000_NS6detail17trampoline_kernelINS0_14default_configENS1_20scan_config_selectorIiEEZZNS1_9scan_implILNS1_25lookback_scan_determinismE0ELb0ELb0ES3_N6thrust23THRUST_200600_302600_NS6detail15normal_iteratorINS9_10device_ptrIiEEEESE_iNS9_4plusIvEEiEEDaPvRmT3_T4_T5_mT6_P12ihipStream_tbENKUlT_T0_E_clISt17integral_constantIbLb1EESU_EEDaSP_SQ_EUlSP_E0_NS1_11comp_targetILNS1_3genE10ELNS1_11target_archE1200ELNS1_3gpuE4ELNS1_3repE0EEENS1_30default_config_static_selectorELNS0_4arch9wavefront6targetE0EEEvT1_,comdat
	.protected	_ZN7rocprim17ROCPRIM_400000_NS6detail17trampoline_kernelINS0_14default_configENS1_20scan_config_selectorIiEEZZNS1_9scan_implILNS1_25lookback_scan_determinismE0ELb0ELb0ES3_N6thrust23THRUST_200600_302600_NS6detail15normal_iteratorINS9_10device_ptrIiEEEESE_iNS9_4plusIvEEiEEDaPvRmT3_T4_T5_mT6_P12ihipStream_tbENKUlT_T0_E_clISt17integral_constantIbLb1EESU_EEDaSP_SQ_EUlSP_E0_NS1_11comp_targetILNS1_3genE10ELNS1_11target_archE1200ELNS1_3gpuE4ELNS1_3repE0EEENS1_30default_config_static_selectorELNS0_4arch9wavefront6targetE0EEEvT1_ ; -- Begin function _ZN7rocprim17ROCPRIM_400000_NS6detail17trampoline_kernelINS0_14default_configENS1_20scan_config_selectorIiEEZZNS1_9scan_implILNS1_25lookback_scan_determinismE0ELb0ELb0ES3_N6thrust23THRUST_200600_302600_NS6detail15normal_iteratorINS9_10device_ptrIiEEEESE_iNS9_4plusIvEEiEEDaPvRmT3_T4_T5_mT6_P12ihipStream_tbENKUlT_T0_E_clISt17integral_constantIbLb1EESU_EEDaSP_SQ_EUlSP_E0_NS1_11comp_targetILNS1_3genE10ELNS1_11target_archE1200ELNS1_3gpuE4ELNS1_3repE0EEENS1_30default_config_static_selectorELNS0_4arch9wavefront6targetE0EEEvT1_
	.globl	_ZN7rocprim17ROCPRIM_400000_NS6detail17trampoline_kernelINS0_14default_configENS1_20scan_config_selectorIiEEZZNS1_9scan_implILNS1_25lookback_scan_determinismE0ELb0ELb0ES3_N6thrust23THRUST_200600_302600_NS6detail15normal_iteratorINS9_10device_ptrIiEEEESE_iNS9_4plusIvEEiEEDaPvRmT3_T4_T5_mT6_P12ihipStream_tbENKUlT_T0_E_clISt17integral_constantIbLb1EESU_EEDaSP_SQ_EUlSP_E0_NS1_11comp_targetILNS1_3genE10ELNS1_11target_archE1200ELNS1_3gpuE4ELNS1_3repE0EEENS1_30default_config_static_selectorELNS0_4arch9wavefront6targetE0EEEvT1_
	.p2align	8
	.type	_ZN7rocprim17ROCPRIM_400000_NS6detail17trampoline_kernelINS0_14default_configENS1_20scan_config_selectorIiEEZZNS1_9scan_implILNS1_25lookback_scan_determinismE0ELb0ELb0ES3_N6thrust23THRUST_200600_302600_NS6detail15normal_iteratorINS9_10device_ptrIiEEEESE_iNS9_4plusIvEEiEEDaPvRmT3_T4_T5_mT6_P12ihipStream_tbENKUlT_T0_E_clISt17integral_constantIbLb1EESU_EEDaSP_SQ_EUlSP_E0_NS1_11comp_targetILNS1_3genE10ELNS1_11target_archE1200ELNS1_3gpuE4ELNS1_3repE0EEENS1_30default_config_static_selectorELNS0_4arch9wavefront6targetE0EEEvT1_,@function
_ZN7rocprim17ROCPRIM_400000_NS6detail17trampoline_kernelINS0_14default_configENS1_20scan_config_selectorIiEEZZNS1_9scan_implILNS1_25lookback_scan_determinismE0ELb0ELb0ES3_N6thrust23THRUST_200600_302600_NS6detail15normal_iteratorINS9_10device_ptrIiEEEESE_iNS9_4plusIvEEiEEDaPvRmT3_T4_T5_mT6_P12ihipStream_tbENKUlT_T0_E_clISt17integral_constantIbLb1EESU_EEDaSP_SQ_EUlSP_E0_NS1_11comp_targetILNS1_3genE10ELNS1_11target_archE1200ELNS1_3gpuE4ELNS1_3repE0EEENS1_30default_config_static_selectorELNS0_4arch9wavefront6targetE0EEEvT1_: ; @_ZN7rocprim17ROCPRIM_400000_NS6detail17trampoline_kernelINS0_14default_configENS1_20scan_config_selectorIiEEZZNS1_9scan_implILNS1_25lookback_scan_determinismE0ELb0ELb0ES3_N6thrust23THRUST_200600_302600_NS6detail15normal_iteratorINS9_10device_ptrIiEEEESE_iNS9_4plusIvEEiEEDaPvRmT3_T4_T5_mT6_P12ihipStream_tbENKUlT_T0_E_clISt17integral_constantIbLb1EESU_EEDaSP_SQ_EUlSP_E0_NS1_11comp_targetILNS1_3genE10ELNS1_11target_archE1200ELNS1_3gpuE4ELNS1_3repE0EEENS1_30default_config_static_selectorELNS0_4arch9wavefront6targetE0EEEvT1_
; %bb.0:
	.section	.rodata,"a",@progbits
	.p2align	6, 0x0
	.amdhsa_kernel _ZN7rocprim17ROCPRIM_400000_NS6detail17trampoline_kernelINS0_14default_configENS1_20scan_config_selectorIiEEZZNS1_9scan_implILNS1_25lookback_scan_determinismE0ELb0ELb0ES3_N6thrust23THRUST_200600_302600_NS6detail15normal_iteratorINS9_10device_ptrIiEEEESE_iNS9_4plusIvEEiEEDaPvRmT3_T4_T5_mT6_P12ihipStream_tbENKUlT_T0_E_clISt17integral_constantIbLb1EESU_EEDaSP_SQ_EUlSP_E0_NS1_11comp_targetILNS1_3genE10ELNS1_11target_archE1200ELNS1_3gpuE4ELNS1_3repE0EEENS1_30default_config_static_selectorELNS0_4arch9wavefront6targetE0EEEvT1_
		.amdhsa_group_segment_fixed_size 0
		.amdhsa_private_segment_fixed_size 0
		.amdhsa_kernarg_size 32
		.amdhsa_user_sgpr_count 15
		.amdhsa_user_sgpr_dispatch_ptr 0
		.amdhsa_user_sgpr_queue_ptr 0
		.amdhsa_user_sgpr_kernarg_segment_ptr 1
		.amdhsa_user_sgpr_dispatch_id 0
		.amdhsa_user_sgpr_private_segment_size 0
		.amdhsa_wavefront_size32 1
		.amdhsa_uses_dynamic_stack 0
		.amdhsa_enable_private_segment 0
		.amdhsa_system_sgpr_workgroup_id_x 1
		.amdhsa_system_sgpr_workgroup_id_y 0
		.amdhsa_system_sgpr_workgroup_id_z 0
		.amdhsa_system_sgpr_workgroup_info 0
		.amdhsa_system_vgpr_workitem_id 0
		.amdhsa_next_free_vgpr 1
		.amdhsa_next_free_sgpr 1
		.amdhsa_reserve_vcc 0
		.amdhsa_float_round_mode_32 0
		.amdhsa_float_round_mode_16_64 0
		.amdhsa_float_denorm_mode_32 3
		.amdhsa_float_denorm_mode_16_64 3
		.amdhsa_dx10_clamp 1
		.amdhsa_ieee_mode 1
		.amdhsa_fp16_overflow 0
		.amdhsa_workgroup_processor_mode 1
		.amdhsa_memory_ordered 1
		.amdhsa_forward_progress 0
		.amdhsa_shared_vgpr_count 0
		.amdhsa_exception_fp_ieee_invalid_op 0
		.amdhsa_exception_fp_denorm_src 0
		.amdhsa_exception_fp_ieee_div_zero 0
		.amdhsa_exception_fp_ieee_overflow 0
		.amdhsa_exception_fp_ieee_underflow 0
		.amdhsa_exception_fp_ieee_inexact 0
		.amdhsa_exception_int_div_zero 0
	.end_amdhsa_kernel
	.section	.text._ZN7rocprim17ROCPRIM_400000_NS6detail17trampoline_kernelINS0_14default_configENS1_20scan_config_selectorIiEEZZNS1_9scan_implILNS1_25lookback_scan_determinismE0ELb0ELb0ES3_N6thrust23THRUST_200600_302600_NS6detail15normal_iteratorINS9_10device_ptrIiEEEESE_iNS9_4plusIvEEiEEDaPvRmT3_T4_T5_mT6_P12ihipStream_tbENKUlT_T0_E_clISt17integral_constantIbLb1EESU_EEDaSP_SQ_EUlSP_E0_NS1_11comp_targetILNS1_3genE10ELNS1_11target_archE1200ELNS1_3gpuE4ELNS1_3repE0EEENS1_30default_config_static_selectorELNS0_4arch9wavefront6targetE0EEEvT1_,"axG",@progbits,_ZN7rocprim17ROCPRIM_400000_NS6detail17trampoline_kernelINS0_14default_configENS1_20scan_config_selectorIiEEZZNS1_9scan_implILNS1_25lookback_scan_determinismE0ELb0ELb0ES3_N6thrust23THRUST_200600_302600_NS6detail15normal_iteratorINS9_10device_ptrIiEEEESE_iNS9_4plusIvEEiEEDaPvRmT3_T4_T5_mT6_P12ihipStream_tbENKUlT_T0_E_clISt17integral_constantIbLb1EESU_EEDaSP_SQ_EUlSP_E0_NS1_11comp_targetILNS1_3genE10ELNS1_11target_archE1200ELNS1_3gpuE4ELNS1_3repE0EEENS1_30default_config_static_selectorELNS0_4arch9wavefront6targetE0EEEvT1_,comdat
.Lfunc_end45:
	.size	_ZN7rocprim17ROCPRIM_400000_NS6detail17trampoline_kernelINS0_14default_configENS1_20scan_config_selectorIiEEZZNS1_9scan_implILNS1_25lookback_scan_determinismE0ELb0ELb0ES3_N6thrust23THRUST_200600_302600_NS6detail15normal_iteratorINS9_10device_ptrIiEEEESE_iNS9_4plusIvEEiEEDaPvRmT3_T4_T5_mT6_P12ihipStream_tbENKUlT_T0_E_clISt17integral_constantIbLb1EESU_EEDaSP_SQ_EUlSP_E0_NS1_11comp_targetILNS1_3genE10ELNS1_11target_archE1200ELNS1_3gpuE4ELNS1_3repE0EEENS1_30default_config_static_selectorELNS0_4arch9wavefront6targetE0EEEvT1_, .Lfunc_end45-_ZN7rocprim17ROCPRIM_400000_NS6detail17trampoline_kernelINS0_14default_configENS1_20scan_config_selectorIiEEZZNS1_9scan_implILNS1_25lookback_scan_determinismE0ELb0ELb0ES3_N6thrust23THRUST_200600_302600_NS6detail15normal_iteratorINS9_10device_ptrIiEEEESE_iNS9_4plusIvEEiEEDaPvRmT3_T4_T5_mT6_P12ihipStream_tbENKUlT_T0_E_clISt17integral_constantIbLb1EESU_EEDaSP_SQ_EUlSP_E0_NS1_11comp_targetILNS1_3genE10ELNS1_11target_archE1200ELNS1_3gpuE4ELNS1_3repE0EEENS1_30default_config_static_selectorELNS0_4arch9wavefront6targetE0EEEvT1_
                                        ; -- End function
	.section	.AMDGPU.csdata,"",@progbits
; Kernel info:
; codeLenInByte = 0
; NumSgprs: 0
; NumVgprs: 0
; ScratchSize: 0
; MemoryBound: 0
; FloatMode: 240
; IeeeMode: 1
; LDSByteSize: 0 bytes/workgroup (compile time only)
; SGPRBlocks: 0
; VGPRBlocks: 0
; NumSGPRsForWavesPerEU: 1
; NumVGPRsForWavesPerEU: 1
; Occupancy: 16
; WaveLimiterHint : 0
; COMPUTE_PGM_RSRC2:SCRATCH_EN: 0
; COMPUTE_PGM_RSRC2:USER_SGPR: 15
; COMPUTE_PGM_RSRC2:TRAP_HANDLER: 0
; COMPUTE_PGM_RSRC2:TGID_X_EN: 1
; COMPUTE_PGM_RSRC2:TGID_Y_EN: 0
; COMPUTE_PGM_RSRC2:TGID_Z_EN: 0
; COMPUTE_PGM_RSRC2:TIDIG_COMP_CNT: 0
	.section	.text._ZN7rocprim17ROCPRIM_400000_NS6detail17trampoline_kernelINS0_14default_configENS1_20scan_config_selectorIiEEZZNS1_9scan_implILNS1_25lookback_scan_determinismE0ELb0ELb0ES3_N6thrust23THRUST_200600_302600_NS6detail15normal_iteratorINS9_10device_ptrIiEEEESE_iNS9_4plusIvEEiEEDaPvRmT3_T4_T5_mT6_P12ihipStream_tbENKUlT_T0_E_clISt17integral_constantIbLb1EESU_EEDaSP_SQ_EUlSP_E0_NS1_11comp_targetILNS1_3genE9ELNS1_11target_archE1100ELNS1_3gpuE3ELNS1_3repE0EEENS1_30default_config_static_selectorELNS0_4arch9wavefront6targetE0EEEvT1_,"axG",@progbits,_ZN7rocprim17ROCPRIM_400000_NS6detail17trampoline_kernelINS0_14default_configENS1_20scan_config_selectorIiEEZZNS1_9scan_implILNS1_25lookback_scan_determinismE0ELb0ELb0ES3_N6thrust23THRUST_200600_302600_NS6detail15normal_iteratorINS9_10device_ptrIiEEEESE_iNS9_4plusIvEEiEEDaPvRmT3_T4_T5_mT6_P12ihipStream_tbENKUlT_T0_E_clISt17integral_constantIbLb1EESU_EEDaSP_SQ_EUlSP_E0_NS1_11comp_targetILNS1_3genE9ELNS1_11target_archE1100ELNS1_3gpuE3ELNS1_3repE0EEENS1_30default_config_static_selectorELNS0_4arch9wavefront6targetE0EEEvT1_,comdat
	.protected	_ZN7rocprim17ROCPRIM_400000_NS6detail17trampoline_kernelINS0_14default_configENS1_20scan_config_selectorIiEEZZNS1_9scan_implILNS1_25lookback_scan_determinismE0ELb0ELb0ES3_N6thrust23THRUST_200600_302600_NS6detail15normal_iteratorINS9_10device_ptrIiEEEESE_iNS9_4plusIvEEiEEDaPvRmT3_T4_T5_mT6_P12ihipStream_tbENKUlT_T0_E_clISt17integral_constantIbLb1EESU_EEDaSP_SQ_EUlSP_E0_NS1_11comp_targetILNS1_3genE9ELNS1_11target_archE1100ELNS1_3gpuE3ELNS1_3repE0EEENS1_30default_config_static_selectorELNS0_4arch9wavefront6targetE0EEEvT1_ ; -- Begin function _ZN7rocprim17ROCPRIM_400000_NS6detail17trampoline_kernelINS0_14default_configENS1_20scan_config_selectorIiEEZZNS1_9scan_implILNS1_25lookback_scan_determinismE0ELb0ELb0ES3_N6thrust23THRUST_200600_302600_NS6detail15normal_iteratorINS9_10device_ptrIiEEEESE_iNS9_4plusIvEEiEEDaPvRmT3_T4_T5_mT6_P12ihipStream_tbENKUlT_T0_E_clISt17integral_constantIbLb1EESU_EEDaSP_SQ_EUlSP_E0_NS1_11comp_targetILNS1_3genE9ELNS1_11target_archE1100ELNS1_3gpuE3ELNS1_3repE0EEENS1_30default_config_static_selectorELNS0_4arch9wavefront6targetE0EEEvT1_
	.globl	_ZN7rocprim17ROCPRIM_400000_NS6detail17trampoline_kernelINS0_14default_configENS1_20scan_config_selectorIiEEZZNS1_9scan_implILNS1_25lookback_scan_determinismE0ELb0ELb0ES3_N6thrust23THRUST_200600_302600_NS6detail15normal_iteratorINS9_10device_ptrIiEEEESE_iNS9_4plusIvEEiEEDaPvRmT3_T4_T5_mT6_P12ihipStream_tbENKUlT_T0_E_clISt17integral_constantIbLb1EESU_EEDaSP_SQ_EUlSP_E0_NS1_11comp_targetILNS1_3genE9ELNS1_11target_archE1100ELNS1_3gpuE3ELNS1_3repE0EEENS1_30default_config_static_selectorELNS0_4arch9wavefront6targetE0EEEvT1_
	.p2align	8
	.type	_ZN7rocprim17ROCPRIM_400000_NS6detail17trampoline_kernelINS0_14default_configENS1_20scan_config_selectorIiEEZZNS1_9scan_implILNS1_25lookback_scan_determinismE0ELb0ELb0ES3_N6thrust23THRUST_200600_302600_NS6detail15normal_iteratorINS9_10device_ptrIiEEEESE_iNS9_4plusIvEEiEEDaPvRmT3_T4_T5_mT6_P12ihipStream_tbENKUlT_T0_E_clISt17integral_constantIbLb1EESU_EEDaSP_SQ_EUlSP_E0_NS1_11comp_targetILNS1_3genE9ELNS1_11target_archE1100ELNS1_3gpuE3ELNS1_3repE0EEENS1_30default_config_static_selectorELNS0_4arch9wavefront6targetE0EEEvT1_,@function
_ZN7rocprim17ROCPRIM_400000_NS6detail17trampoline_kernelINS0_14default_configENS1_20scan_config_selectorIiEEZZNS1_9scan_implILNS1_25lookback_scan_determinismE0ELb0ELb0ES3_N6thrust23THRUST_200600_302600_NS6detail15normal_iteratorINS9_10device_ptrIiEEEESE_iNS9_4plusIvEEiEEDaPvRmT3_T4_T5_mT6_P12ihipStream_tbENKUlT_T0_E_clISt17integral_constantIbLb1EESU_EEDaSP_SQ_EUlSP_E0_NS1_11comp_targetILNS1_3genE9ELNS1_11target_archE1100ELNS1_3gpuE3ELNS1_3repE0EEENS1_30default_config_static_selectorELNS0_4arch9wavefront6targetE0EEEvT1_: ; @_ZN7rocprim17ROCPRIM_400000_NS6detail17trampoline_kernelINS0_14default_configENS1_20scan_config_selectorIiEEZZNS1_9scan_implILNS1_25lookback_scan_determinismE0ELb0ELb0ES3_N6thrust23THRUST_200600_302600_NS6detail15normal_iteratorINS9_10device_ptrIiEEEESE_iNS9_4plusIvEEiEEDaPvRmT3_T4_T5_mT6_P12ihipStream_tbENKUlT_T0_E_clISt17integral_constantIbLb1EESU_EEDaSP_SQ_EUlSP_E0_NS1_11comp_targetILNS1_3genE9ELNS1_11target_archE1100ELNS1_3gpuE3ELNS1_3repE0EEENS1_30default_config_static_selectorELNS0_4arch9wavefront6targetE0EEEvT1_
; %bb.0:
	s_load_b128 s[8:11], s[0:1], 0x0
	v_lshlrev_b32_e32 v5, 2, v0
	s_waitcnt lgkmcnt(0)
	s_load_b32 s4, s[8:9], 0x0
	v_cmp_gt_u32_e32 vcc_lo, s10, v0
	s_waitcnt lgkmcnt(0)
	s_mov_b32 s5, s4
	s_mov_b32 s6, s4
	;; [unrolled: 1-line block ×3, first 2 shown]
	s_delay_alu instid0(SALU_CYCLE_1)
	v_dual_mov_b32 v1, s4 :: v_dual_mov_b32 v4, s7
	v_dual_mov_b32 v11, s4 :: v_dual_mov_b32 v2, s5
	v_mov_b32_e32 v3, s6
	s_and_saveexec_b32 s2, vcc_lo
	s_cbranch_execz .LBB46_2
; %bb.1:
	global_load_b32 v11, v5, s[8:9]
	v_dual_mov_b32 v1, s4 :: v_dual_mov_b32 v2, s5
	v_dual_mov_b32 v3, s6 :: v_dual_mov_b32 v4, s7
                                        ; kill: def $vgpr1 killed $vgpr11 killed $exec
.LBB46_2:
	s_or_b32 exec_lo, exec_lo, s2
	v_or_b32_e32 v1, 0x100, v0
	s_delay_alu instid0(VALU_DEP_1) | instskip(NEXT) | instid1(VALU_DEP_1)
	v_cmp_gt_u32_e64 s2, s10, v1
	s_and_saveexec_b32 s3, s2
	s_cbranch_execz .LBB46_4
; %bb.3:
	global_load_b32 v2, v5, s[8:9] offset:1024
.LBB46_4:
	s_or_b32 exec_lo, exec_lo, s3
	v_or_b32_e32 v6, 0x200, v0
	s_delay_alu instid0(VALU_DEP_1) | instskip(NEXT) | instid1(VALU_DEP_1)
	v_cmp_gt_u32_e64 s3, s10, v6
	s_and_saveexec_b32 s4, s3
	s_cbranch_execz .LBB46_6
; %bb.5:
	global_load_b32 v3, v5, s[8:9] offset:2048
.LBB46_6:
	;; [unrolled: 9-line block ×3, first 2 shown]
	s_or_b32 exec_lo, exec_lo, s5
	v_lshrrev_b32_e32 v10, 3, v0
	v_lshrrev_b32_e32 v1, 3, v1
	;; [unrolled: 1-line block ×4, first 2 shown]
	s_mov_b32 s6, exec_lo
	v_and_b32_e32 v8, 28, v10
	v_and_b32_e32 v1, 60, v1
	;; [unrolled: 1-line block ×4, first 2 shown]
	v_add_lshl_u32 v10, v10, v5, 2
	v_add_nc_u32_e32 v6, v8, v5
	v_add_nc_u32_e32 v7, v1, v5
	;; [unrolled: 1-line block ×4, first 2 shown]
	s_waitcnt vmcnt(0)
	ds_store_b32 v6, v11
	ds_store_b32 v7, v2 offset:1024
	ds_store_b32 v8, v3 offset:2048
	;; [unrolled: 1-line block ×3, first 2 shown]
	s_waitcnt lgkmcnt(0)
	s_barrier
	buffer_gl0_inv
	ds_load_2addr_b32 v[1:2], v10 offset1:1
	ds_load_2addr_b32 v[3:4], v10 offset0:2 offset1:3
	s_waitcnt lgkmcnt(0)
	s_barrier
	buffer_gl0_inv
	v_add_nc_u32_e32 v11, v2, v1
	s_delay_alu instid0(VALU_DEP_1) | instskip(NEXT) | instid1(VALU_DEP_1)
	v_add_nc_u32_e32 v12, v11, v3
	v_add_nc_u32_e32 v13, v12, v4
	ds_store_b32 v6, v13
	s_waitcnt lgkmcnt(0)
	s_barrier
	buffer_gl0_inv
	v_cmpx_gt_u32_e32 32, v0
	s_cbranch_execz .LBB46_10
; %bb.9:
	v_and_b32_e32 v14, 0xfc, v0
	s_delay_alu instid0(VALU_DEP_1)
	v_lshl_or_b32 v22, v0, 5, v14
	ds_load_2addr_b32 v[14:15], v22 offset1:1
	ds_load_2addr_b32 v[16:17], v22 offset0:2 offset1:3
	ds_load_2addr_b32 v[18:19], v22 offset0:4 offset1:5
	ds_load_2addr_b32 v[20:21], v22 offset0:6 offset1:7
	; wave barrier
	s_waitcnt lgkmcnt(3)
	v_add_nc_u32_e32 v15, v15, v14
	s_waitcnt lgkmcnt(2)
	s_delay_alu instid0(VALU_DEP_1) | instskip(SKIP_2) | instid1(VALU_DEP_2)
	v_add3_u32 v15, v15, v16, v17
	v_mbcnt_lo_u32_b32 v16, -1, 0
	s_waitcnt lgkmcnt(1)
	v_add3_u32 v15, v15, v18, v19
	s_delay_alu instid0(VALU_DEP_2) | instskip(SKIP_2) | instid1(VALU_DEP_3)
	v_and_b32_e32 v17, 15, v16
	v_bfe_i32 v19, v16, 4, 1
	s_waitcnt lgkmcnt(0)
	v_add3_u32 v15, v15, v20, v21
	s_delay_alu instid0(VALU_DEP_3) | instskip(NEXT) | instid1(VALU_DEP_2)
	v_cmp_ne_u32_e64 s5, 0, v17
	v_mov_b32_dpp v18, v15 row_shr:1 row_mask:0xf bank_mask:0xf
	s_delay_alu instid0(VALU_DEP_1) | instskip(SKIP_1) | instid1(VALU_DEP_2)
	v_cndmask_b32_e64 v18, 0, v18, s5
	v_cmp_lt_u32_e64 s5, 1, v17
	v_add_nc_u32_e32 v15, v18, v15
	s_delay_alu instid0(VALU_DEP_1) | instskip(NEXT) | instid1(VALU_DEP_1)
	v_mov_b32_dpp v18, v15 row_shr:2 row_mask:0xf bank_mask:0xf
	v_cndmask_b32_e64 v18, 0, v18, s5
	v_cmp_lt_u32_e64 s5, 3, v17
	s_delay_alu instid0(VALU_DEP_2) | instskip(NEXT) | instid1(VALU_DEP_1)
	v_add_nc_u32_e32 v15, v15, v18
	v_mov_b32_dpp v18, v15 row_shr:4 row_mask:0xf bank_mask:0xf
	s_delay_alu instid0(VALU_DEP_1) | instskip(SKIP_1) | instid1(VALU_DEP_2)
	v_cndmask_b32_e64 v18, 0, v18, s5
	v_cmp_lt_u32_e64 s5, 7, v17
	v_add_nc_u32_e32 v15, v15, v18
	s_delay_alu instid0(VALU_DEP_1) | instskip(NEXT) | instid1(VALU_DEP_1)
	v_mov_b32_dpp v18, v15 row_shr:8 row_mask:0xf bank_mask:0xf
	v_cndmask_b32_e64 v17, 0, v18, s5
	v_add_nc_u32_e32 v18, -1, v16
	s_delay_alu instid0(VALU_DEP_2) | instskip(NEXT) | instid1(VALU_DEP_2)
	v_add_nc_u32_e32 v15, v15, v17
	v_cmp_gt_i32_e64 s5, 0, v18
	ds_swizzle_b32 v17, v15 offset:swizzle(BROADCAST,32,15)
	v_cndmask_b32_e64 v16, v18, v16, s5
	v_cmp_eq_u32_e64 s5, 0, v0
	s_delay_alu instid0(VALU_DEP_2) | instskip(SKIP_2) | instid1(VALU_DEP_1)
	v_lshlrev_b32_e32 v16, 2, v16
	s_waitcnt lgkmcnt(0)
	v_and_b32_e32 v17, v19, v17
	v_add_nc_u32_e32 v15, v15, v17
	ds_bpermute_b32 v15, v16, v15
	s_waitcnt lgkmcnt(0)
	v_add_nc_u32_e32 v14, v15, v14
	s_delay_alu instid0(VALU_DEP_1)
	v_cndmask_b32_e64 v20, v14, v13, s5
	ds_store_b32 v22, v20
	; wave barrier
	ds_load_2addr_b32 v[14:15], v22 offset0:1 offset1:2
	ds_load_2addr_b32 v[16:17], v22 offset0:3 offset1:4
	;; [unrolled: 1-line block ×3, first 2 shown]
	ds_load_b32 v21, v22 offset:28
	s_waitcnt lgkmcnt(3)
	v_add_nc_u32_e32 v14, v14, v20
	s_delay_alu instid0(VALU_DEP_1) | instskip(SKIP_1) | instid1(VALU_DEP_1)
	v_add_nc_u32_e32 v15, v15, v14
	s_waitcnt lgkmcnt(2)
	v_add_nc_u32_e32 v16, v16, v15
	s_delay_alu instid0(VALU_DEP_1) | instskip(SKIP_1) | instid1(VALU_DEP_1)
	v_add_nc_u32_e32 v17, v17, v16
	;; [unrolled: 4-line block ×3, first 2 shown]
	s_waitcnt lgkmcnt(0)
	v_add_nc_u32_e32 v20, v21, v19
	ds_store_2addr_b32 v22, v14, v15 offset0:1 offset1:2
	ds_store_2addr_b32 v22, v16, v17 offset0:3 offset1:4
	;; [unrolled: 1-line block ×3, first 2 shown]
	ds_store_b32 v22, v20 offset:28
.LBB46_10:
	s_or_b32 exec_lo, exec_lo, s6
	s_load_b64 s[6:7], s[0:1], 0x18
	v_cmp_ne_u32_e64 s0, 0, v0
	v_mov_b32_e32 v14, v13
	s_waitcnt lgkmcnt(0)
	s_barrier
	buffer_gl0_inv
	s_and_saveexec_b32 s1, s0
	s_cbranch_execz .LBB46_12
; %bb.11:
	v_add_nc_u32_e32 v0, -1, v0
	s_delay_alu instid0(VALU_DEP_1) | instskip(NEXT) | instid1(VALU_DEP_1)
	v_lshrrev_b32_e32 v14, 5, v0
	v_add_lshl_u32 v0, v14, v0, 2
	ds_load_b32 v14, v0
.LBB46_12:
	s_or_b32 exec_lo, exec_lo, s1
	s_and_saveexec_b32 s1, s0
	s_cbranch_execz .LBB46_14
; %bb.13:
	s_waitcnt lgkmcnt(0)
	v_add_nc_u32_e32 v1, v14, v1
	;;#ASMSTART
	;;#ASMEND
	s_delay_alu instid0(VALU_DEP_1) | instskip(NEXT) | instid1(VALU_DEP_1)
	v_add_nc_u32_e32 v11, v1, v2
	v_add_nc_u32_e32 v12, v11, v3
	s_delay_alu instid0(VALU_DEP_1)
	v_add_nc_u32_e32 v13, v12, v4
.LBB46_14:
	s_or_b32 exec_lo, exec_lo, s1
	s_waitcnt lgkmcnt(0)
	s_barrier
	buffer_gl0_inv
	ds_store_2addr_b32 v10, v1, v11 offset1:1
	ds_store_2addr_b32 v10, v12, v13 offset0:2 offset1:3
	s_waitcnt lgkmcnt(0)
	s_barrier
	buffer_gl0_inv
	ds_load_b32 v4, v7 offset:1024
	ds_load_b32 v3, v8 offset:2048
	;; [unrolled: 1-line block ×3, first 2 shown]
	v_add_co_u32 v0, s0, s6, v5
	s_delay_alu instid0(VALU_DEP_1)
	v_add_co_ci_u32_e64 v1, null, s7, 0, s0
	s_and_saveexec_b32 s0, vcc_lo
	s_cbranch_execnz .LBB46_19
; %bb.15:
	s_or_b32 exec_lo, exec_lo, s0
	s_and_saveexec_b32 s0, s2
	s_cbranch_execnz .LBB46_20
.LBB46_16:
	s_or_b32 exec_lo, exec_lo, s0
	s_and_saveexec_b32 s0, s3
	s_cbranch_execnz .LBB46_21
.LBB46_17:
	s_or_b32 exec_lo, exec_lo, s0
	s_and_saveexec_b32 s0, s4
	s_cbranch_execnz .LBB46_22
.LBB46_18:
	s_nop 0
	s_sendmsg sendmsg(MSG_DEALLOC_VGPRS)
	s_endpgm
.LBB46_19:
	ds_load_b32 v5, v6
	s_waitcnt lgkmcnt(0)
	global_store_b32 v[0:1], v5, off
	s_or_b32 exec_lo, exec_lo, s0
	s_and_saveexec_b32 s0, s2
	s_cbranch_execz .LBB46_16
.LBB46_20:
	s_waitcnt lgkmcnt(2)
	global_store_b32 v[0:1], v4, off offset:1024
	s_or_b32 exec_lo, exec_lo, s0
	s_and_saveexec_b32 s0, s3
	s_cbranch_execz .LBB46_17
.LBB46_21:
	s_waitcnt lgkmcnt(1)
	global_store_b32 v[0:1], v3, off offset:2048
	s_or_b32 exec_lo, exec_lo, s0
	s_and_saveexec_b32 s0, s4
	s_cbranch_execz .LBB46_18
.LBB46_22:
	s_waitcnt lgkmcnt(0)
	global_store_b32 v[0:1], v2, off offset:3072
	s_nop 0
	s_sendmsg sendmsg(MSG_DEALLOC_VGPRS)
	s_endpgm
	.section	.rodata,"a",@progbits
	.p2align	6, 0x0
	.amdhsa_kernel _ZN7rocprim17ROCPRIM_400000_NS6detail17trampoline_kernelINS0_14default_configENS1_20scan_config_selectorIiEEZZNS1_9scan_implILNS1_25lookback_scan_determinismE0ELb0ELb0ES3_N6thrust23THRUST_200600_302600_NS6detail15normal_iteratorINS9_10device_ptrIiEEEESE_iNS9_4plusIvEEiEEDaPvRmT3_T4_T5_mT6_P12ihipStream_tbENKUlT_T0_E_clISt17integral_constantIbLb1EESU_EEDaSP_SQ_EUlSP_E0_NS1_11comp_targetILNS1_3genE9ELNS1_11target_archE1100ELNS1_3gpuE3ELNS1_3repE0EEENS1_30default_config_static_selectorELNS0_4arch9wavefront6targetE0EEEvT1_
		.amdhsa_group_segment_fixed_size 4224
		.amdhsa_private_segment_fixed_size 0
		.amdhsa_kernarg_size 32
		.amdhsa_user_sgpr_count 15
		.amdhsa_user_sgpr_dispatch_ptr 0
		.amdhsa_user_sgpr_queue_ptr 0
		.amdhsa_user_sgpr_kernarg_segment_ptr 1
		.amdhsa_user_sgpr_dispatch_id 0
		.amdhsa_user_sgpr_private_segment_size 0
		.amdhsa_wavefront_size32 1
		.amdhsa_uses_dynamic_stack 0
		.amdhsa_enable_private_segment 0
		.amdhsa_system_sgpr_workgroup_id_x 1
		.amdhsa_system_sgpr_workgroup_id_y 0
		.amdhsa_system_sgpr_workgroup_id_z 0
		.amdhsa_system_sgpr_workgroup_info 0
		.amdhsa_system_vgpr_workitem_id 0
		.amdhsa_next_free_vgpr 23
		.amdhsa_next_free_sgpr 12
		.amdhsa_reserve_vcc 1
		.amdhsa_float_round_mode_32 0
		.amdhsa_float_round_mode_16_64 0
		.amdhsa_float_denorm_mode_32 3
		.amdhsa_float_denorm_mode_16_64 3
		.amdhsa_dx10_clamp 1
		.amdhsa_ieee_mode 1
		.amdhsa_fp16_overflow 0
		.amdhsa_workgroup_processor_mode 1
		.amdhsa_memory_ordered 1
		.amdhsa_forward_progress 0
		.amdhsa_shared_vgpr_count 0
		.amdhsa_exception_fp_ieee_invalid_op 0
		.amdhsa_exception_fp_denorm_src 0
		.amdhsa_exception_fp_ieee_div_zero 0
		.amdhsa_exception_fp_ieee_overflow 0
		.amdhsa_exception_fp_ieee_underflow 0
		.amdhsa_exception_fp_ieee_inexact 0
		.amdhsa_exception_int_div_zero 0
	.end_amdhsa_kernel
	.section	.text._ZN7rocprim17ROCPRIM_400000_NS6detail17trampoline_kernelINS0_14default_configENS1_20scan_config_selectorIiEEZZNS1_9scan_implILNS1_25lookback_scan_determinismE0ELb0ELb0ES3_N6thrust23THRUST_200600_302600_NS6detail15normal_iteratorINS9_10device_ptrIiEEEESE_iNS9_4plusIvEEiEEDaPvRmT3_T4_T5_mT6_P12ihipStream_tbENKUlT_T0_E_clISt17integral_constantIbLb1EESU_EEDaSP_SQ_EUlSP_E0_NS1_11comp_targetILNS1_3genE9ELNS1_11target_archE1100ELNS1_3gpuE3ELNS1_3repE0EEENS1_30default_config_static_selectorELNS0_4arch9wavefront6targetE0EEEvT1_,"axG",@progbits,_ZN7rocprim17ROCPRIM_400000_NS6detail17trampoline_kernelINS0_14default_configENS1_20scan_config_selectorIiEEZZNS1_9scan_implILNS1_25lookback_scan_determinismE0ELb0ELb0ES3_N6thrust23THRUST_200600_302600_NS6detail15normal_iteratorINS9_10device_ptrIiEEEESE_iNS9_4plusIvEEiEEDaPvRmT3_T4_T5_mT6_P12ihipStream_tbENKUlT_T0_E_clISt17integral_constantIbLb1EESU_EEDaSP_SQ_EUlSP_E0_NS1_11comp_targetILNS1_3genE9ELNS1_11target_archE1100ELNS1_3gpuE3ELNS1_3repE0EEENS1_30default_config_static_selectorELNS0_4arch9wavefront6targetE0EEEvT1_,comdat
.Lfunc_end46:
	.size	_ZN7rocprim17ROCPRIM_400000_NS6detail17trampoline_kernelINS0_14default_configENS1_20scan_config_selectorIiEEZZNS1_9scan_implILNS1_25lookback_scan_determinismE0ELb0ELb0ES3_N6thrust23THRUST_200600_302600_NS6detail15normal_iteratorINS9_10device_ptrIiEEEESE_iNS9_4plusIvEEiEEDaPvRmT3_T4_T5_mT6_P12ihipStream_tbENKUlT_T0_E_clISt17integral_constantIbLb1EESU_EEDaSP_SQ_EUlSP_E0_NS1_11comp_targetILNS1_3genE9ELNS1_11target_archE1100ELNS1_3gpuE3ELNS1_3repE0EEENS1_30default_config_static_selectorELNS0_4arch9wavefront6targetE0EEEvT1_, .Lfunc_end46-_ZN7rocprim17ROCPRIM_400000_NS6detail17trampoline_kernelINS0_14default_configENS1_20scan_config_selectorIiEEZZNS1_9scan_implILNS1_25lookback_scan_determinismE0ELb0ELb0ES3_N6thrust23THRUST_200600_302600_NS6detail15normal_iteratorINS9_10device_ptrIiEEEESE_iNS9_4plusIvEEiEEDaPvRmT3_T4_T5_mT6_P12ihipStream_tbENKUlT_T0_E_clISt17integral_constantIbLb1EESU_EEDaSP_SQ_EUlSP_E0_NS1_11comp_targetILNS1_3genE9ELNS1_11target_archE1100ELNS1_3gpuE3ELNS1_3repE0EEENS1_30default_config_static_selectorELNS0_4arch9wavefront6targetE0EEEvT1_
                                        ; -- End function
	.section	.AMDGPU.csdata,"",@progbits
; Kernel info:
; codeLenInByte = 1272
; NumSgprs: 14
; NumVgprs: 23
; ScratchSize: 0
; MemoryBound: 0
; FloatMode: 240
; IeeeMode: 1
; LDSByteSize: 4224 bytes/workgroup (compile time only)
; SGPRBlocks: 1
; VGPRBlocks: 2
; NumSGPRsForWavesPerEU: 14
; NumVGPRsForWavesPerEU: 23
; Occupancy: 16
; WaveLimiterHint : 0
; COMPUTE_PGM_RSRC2:SCRATCH_EN: 0
; COMPUTE_PGM_RSRC2:USER_SGPR: 15
; COMPUTE_PGM_RSRC2:TRAP_HANDLER: 0
; COMPUTE_PGM_RSRC2:TGID_X_EN: 1
; COMPUTE_PGM_RSRC2:TGID_Y_EN: 0
; COMPUTE_PGM_RSRC2:TGID_Z_EN: 0
; COMPUTE_PGM_RSRC2:TIDIG_COMP_CNT: 0
	.section	.text._ZN7rocprim17ROCPRIM_400000_NS6detail17trampoline_kernelINS0_14default_configENS1_20scan_config_selectorIiEEZZNS1_9scan_implILNS1_25lookback_scan_determinismE0ELb0ELb0ES3_N6thrust23THRUST_200600_302600_NS6detail15normal_iteratorINS9_10device_ptrIiEEEESE_iNS9_4plusIvEEiEEDaPvRmT3_T4_T5_mT6_P12ihipStream_tbENKUlT_T0_E_clISt17integral_constantIbLb1EESU_EEDaSP_SQ_EUlSP_E0_NS1_11comp_targetILNS1_3genE8ELNS1_11target_archE1030ELNS1_3gpuE2ELNS1_3repE0EEENS1_30default_config_static_selectorELNS0_4arch9wavefront6targetE0EEEvT1_,"axG",@progbits,_ZN7rocprim17ROCPRIM_400000_NS6detail17trampoline_kernelINS0_14default_configENS1_20scan_config_selectorIiEEZZNS1_9scan_implILNS1_25lookback_scan_determinismE0ELb0ELb0ES3_N6thrust23THRUST_200600_302600_NS6detail15normal_iteratorINS9_10device_ptrIiEEEESE_iNS9_4plusIvEEiEEDaPvRmT3_T4_T5_mT6_P12ihipStream_tbENKUlT_T0_E_clISt17integral_constantIbLb1EESU_EEDaSP_SQ_EUlSP_E0_NS1_11comp_targetILNS1_3genE8ELNS1_11target_archE1030ELNS1_3gpuE2ELNS1_3repE0EEENS1_30default_config_static_selectorELNS0_4arch9wavefront6targetE0EEEvT1_,comdat
	.protected	_ZN7rocprim17ROCPRIM_400000_NS6detail17trampoline_kernelINS0_14default_configENS1_20scan_config_selectorIiEEZZNS1_9scan_implILNS1_25lookback_scan_determinismE0ELb0ELb0ES3_N6thrust23THRUST_200600_302600_NS6detail15normal_iteratorINS9_10device_ptrIiEEEESE_iNS9_4plusIvEEiEEDaPvRmT3_T4_T5_mT6_P12ihipStream_tbENKUlT_T0_E_clISt17integral_constantIbLb1EESU_EEDaSP_SQ_EUlSP_E0_NS1_11comp_targetILNS1_3genE8ELNS1_11target_archE1030ELNS1_3gpuE2ELNS1_3repE0EEENS1_30default_config_static_selectorELNS0_4arch9wavefront6targetE0EEEvT1_ ; -- Begin function _ZN7rocprim17ROCPRIM_400000_NS6detail17trampoline_kernelINS0_14default_configENS1_20scan_config_selectorIiEEZZNS1_9scan_implILNS1_25lookback_scan_determinismE0ELb0ELb0ES3_N6thrust23THRUST_200600_302600_NS6detail15normal_iteratorINS9_10device_ptrIiEEEESE_iNS9_4plusIvEEiEEDaPvRmT3_T4_T5_mT6_P12ihipStream_tbENKUlT_T0_E_clISt17integral_constantIbLb1EESU_EEDaSP_SQ_EUlSP_E0_NS1_11comp_targetILNS1_3genE8ELNS1_11target_archE1030ELNS1_3gpuE2ELNS1_3repE0EEENS1_30default_config_static_selectorELNS0_4arch9wavefront6targetE0EEEvT1_
	.globl	_ZN7rocprim17ROCPRIM_400000_NS6detail17trampoline_kernelINS0_14default_configENS1_20scan_config_selectorIiEEZZNS1_9scan_implILNS1_25lookback_scan_determinismE0ELb0ELb0ES3_N6thrust23THRUST_200600_302600_NS6detail15normal_iteratorINS9_10device_ptrIiEEEESE_iNS9_4plusIvEEiEEDaPvRmT3_T4_T5_mT6_P12ihipStream_tbENKUlT_T0_E_clISt17integral_constantIbLb1EESU_EEDaSP_SQ_EUlSP_E0_NS1_11comp_targetILNS1_3genE8ELNS1_11target_archE1030ELNS1_3gpuE2ELNS1_3repE0EEENS1_30default_config_static_selectorELNS0_4arch9wavefront6targetE0EEEvT1_
	.p2align	8
	.type	_ZN7rocprim17ROCPRIM_400000_NS6detail17trampoline_kernelINS0_14default_configENS1_20scan_config_selectorIiEEZZNS1_9scan_implILNS1_25lookback_scan_determinismE0ELb0ELb0ES3_N6thrust23THRUST_200600_302600_NS6detail15normal_iteratorINS9_10device_ptrIiEEEESE_iNS9_4plusIvEEiEEDaPvRmT3_T4_T5_mT6_P12ihipStream_tbENKUlT_T0_E_clISt17integral_constantIbLb1EESU_EEDaSP_SQ_EUlSP_E0_NS1_11comp_targetILNS1_3genE8ELNS1_11target_archE1030ELNS1_3gpuE2ELNS1_3repE0EEENS1_30default_config_static_selectorELNS0_4arch9wavefront6targetE0EEEvT1_,@function
_ZN7rocprim17ROCPRIM_400000_NS6detail17trampoline_kernelINS0_14default_configENS1_20scan_config_selectorIiEEZZNS1_9scan_implILNS1_25lookback_scan_determinismE0ELb0ELb0ES3_N6thrust23THRUST_200600_302600_NS6detail15normal_iteratorINS9_10device_ptrIiEEEESE_iNS9_4plusIvEEiEEDaPvRmT3_T4_T5_mT6_P12ihipStream_tbENKUlT_T0_E_clISt17integral_constantIbLb1EESU_EEDaSP_SQ_EUlSP_E0_NS1_11comp_targetILNS1_3genE8ELNS1_11target_archE1030ELNS1_3gpuE2ELNS1_3repE0EEENS1_30default_config_static_selectorELNS0_4arch9wavefront6targetE0EEEvT1_: ; @_ZN7rocprim17ROCPRIM_400000_NS6detail17trampoline_kernelINS0_14default_configENS1_20scan_config_selectorIiEEZZNS1_9scan_implILNS1_25lookback_scan_determinismE0ELb0ELb0ES3_N6thrust23THRUST_200600_302600_NS6detail15normal_iteratorINS9_10device_ptrIiEEEESE_iNS9_4plusIvEEiEEDaPvRmT3_T4_T5_mT6_P12ihipStream_tbENKUlT_T0_E_clISt17integral_constantIbLb1EESU_EEDaSP_SQ_EUlSP_E0_NS1_11comp_targetILNS1_3genE8ELNS1_11target_archE1030ELNS1_3gpuE2ELNS1_3repE0EEENS1_30default_config_static_selectorELNS0_4arch9wavefront6targetE0EEEvT1_
; %bb.0:
	.section	.rodata,"a",@progbits
	.p2align	6, 0x0
	.amdhsa_kernel _ZN7rocprim17ROCPRIM_400000_NS6detail17trampoline_kernelINS0_14default_configENS1_20scan_config_selectorIiEEZZNS1_9scan_implILNS1_25lookback_scan_determinismE0ELb0ELb0ES3_N6thrust23THRUST_200600_302600_NS6detail15normal_iteratorINS9_10device_ptrIiEEEESE_iNS9_4plusIvEEiEEDaPvRmT3_T4_T5_mT6_P12ihipStream_tbENKUlT_T0_E_clISt17integral_constantIbLb1EESU_EEDaSP_SQ_EUlSP_E0_NS1_11comp_targetILNS1_3genE8ELNS1_11target_archE1030ELNS1_3gpuE2ELNS1_3repE0EEENS1_30default_config_static_selectorELNS0_4arch9wavefront6targetE0EEEvT1_
		.amdhsa_group_segment_fixed_size 0
		.amdhsa_private_segment_fixed_size 0
		.amdhsa_kernarg_size 32
		.amdhsa_user_sgpr_count 15
		.amdhsa_user_sgpr_dispatch_ptr 0
		.amdhsa_user_sgpr_queue_ptr 0
		.amdhsa_user_sgpr_kernarg_segment_ptr 1
		.amdhsa_user_sgpr_dispatch_id 0
		.amdhsa_user_sgpr_private_segment_size 0
		.amdhsa_wavefront_size32 1
		.amdhsa_uses_dynamic_stack 0
		.amdhsa_enable_private_segment 0
		.amdhsa_system_sgpr_workgroup_id_x 1
		.amdhsa_system_sgpr_workgroup_id_y 0
		.amdhsa_system_sgpr_workgroup_id_z 0
		.amdhsa_system_sgpr_workgroup_info 0
		.amdhsa_system_vgpr_workitem_id 0
		.amdhsa_next_free_vgpr 1
		.amdhsa_next_free_sgpr 1
		.amdhsa_reserve_vcc 0
		.amdhsa_float_round_mode_32 0
		.amdhsa_float_round_mode_16_64 0
		.amdhsa_float_denorm_mode_32 3
		.amdhsa_float_denorm_mode_16_64 3
		.amdhsa_dx10_clamp 1
		.amdhsa_ieee_mode 1
		.amdhsa_fp16_overflow 0
		.amdhsa_workgroup_processor_mode 1
		.amdhsa_memory_ordered 1
		.amdhsa_forward_progress 0
		.amdhsa_shared_vgpr_count 0
		.amdhsa_exception_fp_ieee_invalid_op 0
		.amdhsa_exception_fp_denorm_src 0
		.amdhsa_exception_fp_ieee_div_zero 0
		.amdhsa_exception_fp_ieee_overflow 0
		.amdhsa_exception_fp_ieee_underflow 0
		.amdhsa_exception_fp_ieee_inexact 0
		.amdhsa_exception_int_div_zero 0
	.end_amdhsa_kernel
	.section	.text._ZN7rocprim17ROCPRIM_400000_NS6detail17trampoline_kernelINS0_14default_configENS1_20scan_config_selectorIiEEZZNS1_9scan_implILNS1_25lookback_scan_determinismE0ELb0ELb0ES3_N6thrust23THRUST_200600_302600_NS6detail15normal_iteratorINS9_10device_ptrIiEEEESE_iNS9_4plusIvEEiEEDaPvRmT3_T4_T5_mT6_P12ihipStream_tbENKUlT_T0_E_clISt17integral_constantIbLb1EESU_EEDaSP_SQ_EUlSP_E0_NS1_11comp_targetILNS1_3genE8ELNS1_11target_archE1030ELNS1_3gpuE2ELNS1_3repE0EEENS1_30default_config_static_selectorELNS0_4arch9wavefront6targetE0EEEvT1_,"axG",@progbits,_ZN7rocprim17ROCPRIM_400000_NS6detail17trampoline_kernelINS0_14default_configENS1_20scan_config_selectorIiEEZZNS1_9scan_implILNS1_25lookback_scan_determinismE0ELb0ELb0ES3_N6thrust23THRUST_200600_302600_NS6detail15normal_iteratorINS9_10device_ptrIiEEEESE_iNS9_4plusIvEEiEEDaPvRmT3_T4_T5_mT6_P12ihipStream_tbENKUlT_T0_E_clISt17integral_constantIbLb1EESU_EEDaSP_SQ_EUlSP_E0_NS1_11comp_targetILNS1_3genE8ELNS1_11target_archE1030ELNS1_3gpuE2ELNS1_3repE0EEENS1_30default_config_static_selectorELNS0_4arch9wavefront6targetE0EEEvT1_,comdat
.Lfunc_end47:
	.size	_ZN7rocprim17ROCPRIM_400000_NS6detail17trampoline_kernelINS0_14default_configENS1_20scan_config_selectorIiEEZZNS1_9scan_implILNS1_25lookback_scan_determinismE0ELb0ELb0ES3_N6thrust23THRUST_200600_302600_NS6detail15normal_iteratorINS9_10device_ptrIiEEEESE_iNS9_4plusIvEEiEEDaPvRmT3_T4_T5_mT6_P12ihipStream_tbENKUlT_T0_E_clISt17integral_constantIbLb1EESU_EEDaSP_SQ_EUlSP_E0_NS1_11comp_targetILNS1_3genE8ELNS1_11target_archE1030ELNS1_3gpuE2ELNS1_3repE0EEENS1_30default_config_static_selectorELNS0_4arch9wavefront6targetE0EEEvT1_, .Lfunc_end47-_ZN7rocprim17ROCPRIM_400000_NS6detail17trampoline_kernelINS0_14default_configENS1_20scan_config_selectorIiEEZZNS1_9scan_implILNS1_25lookback_scan_determinismE0ELb0ELb0ES3_N6thrust23THRUST_200600_302600_NS6detail15normal_iteratorINS9_10device_ptrIiEEEESE_iNS9_4plusIvEEiEEDaPvRmT3_T4_T5_mT6_P12ihipStream_tbENKUlT_T0_E_clISt17integral_constantIbLb1EESU_EEDaSP_SQ_EUlSP_E0_NS1_11comp_targetILNS1_3genE8ELNS1_11target_archE1030ELNS1_3gpuE2ELNS1_3repE0EEENS1_30default_config_static_selectorELNS0_4arch9wavefront6targetE0EEEvT1_
                                        ; -- End function
	.section	.AMDGPU.csdata,"",@progbits
; Kernel info:
; codeLenInByte = 0
; NumSgprs: 0
; NumVgprs: 0
; ScratchSize: 0
; MemoryBound: 0
; FloatMode: 240
; IeeeMode: 1
; LDSByteSize: 0 bytes/workgroup (compile time only)
; SGPRBlocks: 0
; VGPRBlocks: 0
; NumSGPRsForWavesPerEU: 1
; NumVGPRsForWavesPerEU: 1
; Occupancy: 16
; WaveLimiterHint : 0
; COMPUTE_PGM_RSRC2:SCRATCH_EN: 0
; COMPUTE_PGM_RSRC2:USER_SGPR: 15
; COMPUTE_PGM_RSRC2:TRAP_HANDLER: 0
; COMPUTE_PGM_RSRC2:TGID_X_EN: 1
; COMPUTE_PGM_RSRC2:TGID_Y_EN: 0
; COMPUTE_PGM_RSRC2:TGID_Z_EN: 0
; COMPUTE_PGM_RSRC2:TIDIG_COMP_CNT: 0
	.section	.text._ZN7rocprim17ROCPRIM_400000_NS6detail31init_lookback_scan_state_kernelINS1_19lookback_scan_stateIiLb1ELb1EEENS1_16block_id_wrapperIjLb0EEEEEvT_jT0_jPNS7_10value_typeE,"axG",@progbits,_ZN7rocprim17ROCPRIM_400000_NS6detail31init_lookback_scan_state_kernelINS1_19lookback_scan_stateIiLb1ELb1EEENS1_16block_id_wrapperIjLb0EEEEEvT_jT0_jPNS7_10value_typeE,comdat
	.protected	_ZN7rocprim17ROCPRIM_400000_NS6detail31init_lookback_scan_state_kernelINS1_19lookback_scan_stateIiLb1ELb1EEENS1_16block_id_wrapperIjLb0EEEEEvT_jT0_jPNS7_10value_typeE ; -- Begin function _ZN7rocprim17ROCPRIM_400000_NS6detail31init_lookback_scan_state_kernelINS1_19lookback_scan_stateIiLb1ELb1EEENS1_16block_id_wrapperIjLb0EEEEEvT_jT0_jPNS7_10value_typeE
	.globl	_ZN7rocprim17ROCPRIM_400000_NS6detail31init_lookback_scan_state_kernelINS1_19lookback_scan_stateIiLb1ELb1EEENS1_16block_id_wrapperIjLb0EEEEEvT_jT0_jPNS7_10value_typeE
	.p2align	8
	.type	_ZN7rocprim17ROCPRIM_400000_NS6detail31init_lookback_scan_state_kernelINS1_19lookback_scan_stateIiLb1ELb1EEENS1_16block_id_wrapperIjLb0EEEEEvT_jT0_jPNS7_10value_typeE,@function
_ZN7rocprim17ROCPRIM_400000_NS6detail31init_lookback_scan_state_kernelINS1_19lookback_scan_stateIiLb1ELb1EEENS1_16block_id_wrapperIjLb0EEEEEvT_jT0_jPNS7_10value_typeE: ; @_ZN7rocprim17ROCPRIM_400000_NS6detail31init_lookback_scan_state_kernelINS1_19lookback_scan_stateIiLb1ELb1EEENS1_16block_id_wrapperIjLb0EEEEEvT_jT0_jPNS7_10value_typeE
; %bb.0:
	s_clause 0x3
	s_load_b32 s7, s[0:1], 0x2c
	s_load_b64 s[4:5], s[0:1], 0x18
	s_load_b64 s[2:3], s[0:1], 0x0
	s_load_b32 s6, s[0:1], 0x8
	s_waitcnt lgkmcnt(0)
	s_and_b32 s7, s7, 0xffff
	s_cmp_eq_u64 s[4:5], 0
	v_mad_u64_u32 v[1:2], null, s15, s7, v[0:1]
	s_cbranch_scc1 .LBB48_9
; %bb.1:
	s_load_b32 s0, s[0:1], 0x10
	s_waitcnt lgkmcnt(0)
	s_cmp_lt_u32 s0, s6
	s_cselect_b32 s1, s0, 0
	s_delay_alu instid0(VALU_DEP_1) | instid1(SALU_CYCLE_1)
	v_cmp_eq_u32_e32 vcc_lo, s1, v1
	s_mov_b32 s1, 0
	s_and_saveexec_b32 s7, vcc_lo
	s_cbranch_execz .LBB48_8
; %bb.2:
	s_add_i32 s0, s0, 32
	v_mov_b32_e32 v2, 0
	s_lshl_b64 s[0:1], s[0:1], 3
	s_delay_alu instid0(SALU_CYCLE_1) | instskip(SKIP_4) | instid1(VALU_DEP_1)
	s_add_u32 s0, s2, s0
	s_addc_u32 s1, s3, s1
	global_load_b64 v[4:5], v2, s[0:1] glc
	s_waitcnt vmcnt(0)
	v_and_b32_e32 v3, 0xff, v5
	v_cmp_ne_u64_e32 vcc_lo, 0, v[2:3]
	s_cbranch_vccnz .LBB48_7
; %bb.3:
	s_mov_b32 s8, 1
.LBB48_4:                               ; =>This Loop Header: Depth=1
                                        ;     Child Loop BB48_5 Depth 2
	s_delay_alu instid0(SALU_CYCLE_1)
	s_max_u32 s9, s8, 1
.LBB48_5:                               ;   Parent Loop BB48_4 Depth=1
                                        ; =>  This Inner Loop Header: Depth=2
	s_delay_alu instid0(SALU_CYCLE_1)
	s_add_i32 s9, s9, -1
	s_sleep 1
	s_cmp_eq_u32 s9, 0
	s_cbranch_scc0 .LBB48_5
; %bb.6:                                ;   in Loop: Header=BB48_4 Depth=1
	global_load_b64 v[4:5], v2, s[0:1] glc
	s_cmp_lt_u32 s8, 32
	s_cselect_b32 s9, -1, 0
	s_delay_alu instid0(SALU_CYCLE_1) | instskip(SKIP_3) | instid1(VALU_DEP_1)
	s_cmp_lg_u32 s9, 0
	s_addc_u32 s8, s8, 0
	s_waitcnt vmcnt(0)
	v_and_b32_e32 v3, 0xff, v5
	v_cmp_ne_u64_e32 vcc_lo, 0, v[2:3]
	s_cbranch_vccz .LBB48_4
.LBB48_7:
	v_mov_b32_e32 v0, 0
	global_store_b32 v0, v4, s[4:5]
.LBB48_8:
	s_or_b32 exec_lo, exec_lo, s7
.LBB48_9:
	s_delay_alu instid0(SALU_CYCLE_1) | instskip(NEXT) | instid1(VALU_DEP_1)
	s_mov_b32 s0, exec_lo
	v_cmpx_gt_u32_e64 s6, v1
	s_cbranch_execz .LBB48_11
; %bb.10:
	v_dual_mov_b32 v3, 0 :: v_dual_add_nc_u32 v2, 32, v1
	s_delay_alu instid0(VALU_DEP_1) | instskip(SKIP_1) | instid1(VALU_DEP_2)
	v_lshlrev_b64 v[4:5], 3, v[2:3]
	v_mov_b32_e32 v2, v3
	v_add_co_u32 v4, vcc_lo, s2, v4
	s_delay_alu instid0(VALU_DEP_3)
	v_add_co_ci_u32_e32 v5, vcc_lo, s3, v5, vcc_lo
	global_store_b64 v[4:5], v[2:3], off
.LBB48_11:
	s_or_b32 exec_lo, exec_lo, s0
	s_delay_alu instid0(SALU_CYCLE_1)
	s_mov_b32 s0, exec_lo
	v_cmpx_gt_u32_e32 32, v1
	s_cbranch_execz .LBB48_13
; %bb.12:
	v_dual_mov_b32 v2, 0 :: v_dual_mov_b32 v3, 0xff
	s_delay_alu instid0(VALU_DEP_1) | instskip(NEXT) | instid1(VALU_DEP_1)
	v_lshlrev_b64 v[0:1], 3, v[1:2]
	v_add_co_u32 v0, vcc_lo, s2, v0
	s_delay_alu instid0(VALU_DEP_2)
	v_add_co_ci_u32_e32 v1, vcc_lo, s3, v1, vcc_lo
	global_store_b64 v[0:1], v[2:3], off
.LBB48_13:
	s_nop 0
	s_sendmsg sendmsg(MSG_DEALLOC_VGPRS)
	s_endpgm
	.section	.rodata,"a",@progbits
	.p2align	6, 0x0
	.amdhsa_kernel _ZN7rocprim17ROCPRIM_400000_NS6detail31init_lookback_scan_state_kernelINS1_19lookback_scan_stateIiLb1ELb1EEENS1_16block_id_wrapperIjLb0EEEEEvT_jT0_jPNS7_10value_typeE
		.amdhsa_group_segment_fixed_size 0
		.amdhsa_private_segment_fixed_size 0
		.amdhsa_kernarg_size 288
		.amdhsa_user_sgpr_count 15
		.amdhsa_user_sgpr_dispatch_ptr 0
		.amdhsa_user_sgpr_queue_ptr 0
		.amdhsa_user_sgpr_kernarg_segment_ptr 1
		.amdhsa_user_sgpr_dispatch_id 0
		.amdhsa_user_sgpr_private_segment_size 0
		.amdhsa_wavefront_size32 1
		.amdhsa_uses_dynamic_stack 0
		.amdhsa_enable_private_segment 0
		.amdhsa_system_sgpr_workgroup_id_x 1
		.amdhsa_system_sgpr_workgroup_id_y 0
		.amdhsa_system_sgpr_workgroup_id_z 0
		.amdhsa_system_sgpr_workgroup_info 0
		.amdhsa_system_vgpr_workitem_id 0
		.amdhsa_next_free_vgpr 6
		.amdhsa_next_free_sgpr 16
		.amdhsa_reserve_vcc 1
		.amdhsa_float_round_mode_32 0
		.amdhsa_float_round_mode_16_64 0
		.amdhsa_float_denorm_mode_32 3
		.amdhsa_float_denorm_mode_16_64 3
		.amdhsa_dx10_clamp 1
		.amdhsa_ieee_mode 1
		.amdhsa_fp16_overflow 0
		.amdhsa_workgroup_processor_mode 1
		.amdhsa_memory_ordered 1
		.amdhsa_forward_progress 0
		.amdhsa_shared_vgpr_count 0
		.amdhsa_exception_fp_ieee_invalid_op 0
		.amdhsa_exception_fp_denorm_src 0
		.amdhsa_exception_fp_ieee_div_zero 0
		.amdhsa_exception_fp_ieee_overflow 0
		.amdhsa_exception_fp_ieee_underflow 0
		.amdhsa_exception_fp_ieee_inexact 0
		.amdhsa_exception_int_div_zero 0
	.end_amdhsa_kernel
	.section	.text._ZN7rocprim17ROCPRIM_400000_NS6detail31init_lookback_scan_state_kernelINS1_19lookback_scan_stateIiLb1ELb1EEENS1_16block_id_wrapperIjLb0EEEEEvT_jT0_jPNS7_10value_typeE,"axG",@progbits,_ZN7rocprim17ROCPRIM_400000_NS6detail31init_lookback_scan_state_kernelINS1_19lookback_scan_stateIiLb1ELb1EEENS1_16block_id_wrapperIjLb0EEEEEvT_jT0_jPNS7_10value_typeE,comdat
.Lfunc_end48:
	.size	_ZN7rocprim17ROCPRIM_400000_NS6detail31init_lookback_scan_state_kernelINS1_19lookback_scan_stateIiLb1ELb1EEENS1_16block_id_wrapperIjLb0EEEEEvT_jT0_jPNS7_10value_typeE, .Lfunc_end48-_ZN7rocprim17ROCPRIM_400000_NS6detail31init_lookback_scan_state_kernelINS1_19lookback_scan_stateIiLb1ELb1EEENS1_16block_id_wrapperIjLb0EEEEEvT_jT0_jPNS7_10value_typeE
                                        ; -- End function
	.section	.AMDGPU.csdata,"",@progbits
; Kernel info:
; codeLenInByte = 400
; NumSgprs: 18
; NumVgprs: 6
; ScratchSize: 0
; MemoryBound: 0
; FloatMode: 240
; IeeeMode: 1
; LDSByteSize: 0 bytes/workgroup (compile time only)
; SGPRBlocks: 2
; VGPRBlocks: 0
; NumSGPRsForWavesPerEU: 18
; NumVGPRsForWavesPerEU: 6
; Occupancy: 16
; WaveLimiterHint : 0
; COMPUTE_PGM_RSRC2:SCRATCH_EN: 0
; COMPUTE_PGM_RSRC2:USER_SGPR: 15
; COMPUTE_PGM_RSRC2:TRAP_HANDLER: 0
; COMPUTE_PGM_RSRC2:TGID_X_EN: 1
; COMPUTE_PGM_RSRC2:TGID_Y_EN: 0
; COMPUTE_PGM_RSRC2:TGID_Z_EN: 0
; COMPUTE_PGM_RSRC2:TIDIG_COMP_CNT: 0
	.section	.text._ZN7rocprim17ROCPRIM_400000_NS6detail17trampoline_kernelINS0_14default_configENS1_20scan_config_selectorIiEEZZNS1_9scan_implILNS1_25lookback_scan_determinismE0ELb0ELb0ES3_N6thrust23THRUST_200600_302600_NS6detail15normal_iteratorINS9_10device_ptrIiEEEESE_iNS9_4plusIvEEiEEDaPvRmT3_T4_T5_mT6_P12ihipStream_tbENKUlT_T0_E_clISt17integral_constantIbLb1EEST_IbLb0EEEEDaSP_SQ_EUlSP_E_NS1_11comp_targetILNS1_3genE0ELNS1_11target_archE4294967295ELNS1_3gpuE0ELNS1_3repE0EEENS1_30default_config_static_selectorELNS0_4arch9wavefront6targetE0EEEvT1_,"axG",@progbits,_ZN7rocprim17ROCPRIM_400000_NS6detail17trampoline_kernelINS0_14default_configENS1_20scan_config_selectorIiEEZZNS1_9scan_implILNS1_25lookback_scan_determinismE0ELb0ELb0ES3_N6thrust23THRUST_200600_302600_NS6detail15normal_iteratorINS9_10device_ptrIiEEEESE_iNS9_4plusIvEEiEEDaPvRmT3_T4_T5_mT6_P12ihipStream_tbENKUlT_T0_E_clISt17integral_constantIbLb1EEST_IbLb0EEEEDaSP_SQ_EUlSP_E_NS1_11comp_targetILNS1_3genE0ELNS1_11target_archE4294967295ELNS1_3gpuE0ELNS1_3repE0EEENS1_30default_config_static_selectorELNS0_4arch9wavefront6targetE0EEEvT1_,comdat
	.protected	_ZN7rocprim17ROCPRIM_400000_NS6detail17trampoline_kernelINS0_14default_configENS1_20scan_config_selectorIiEEZZNS1_9scan_implILNS1_25lookback_scan_determinismE0ELb0ELb0ES3_N6thrust23THRUST_200600_302600_NS6detail15normal_iteratorINS9_10device_ptrIiEEEESE_iNS9_4plusIvEEiEEDaPvRmT3_T4_T5_mT6_P12ihipStream_tbENKUlT_T0_E_clISt17integral_constantIbLb1EEST_IbLb0EEEEDaSP_SQ_EUlSP_E_NS1_11comp_targetILNS1_3genE0ELNS1_11target_archE4294967295ELNS1_3gpuE0ELNS1_3repE0EEENS1_30default_config_static_selectorELNS0_4arch9wavefront6targetE0EEEvT1_ ; -- Begin function _ZN7rocprim17ROCPRIM_400000_NS6detail17trampoline_kernelINS0_14default_configENS1_20scan_config_selectorIiEEZZNS1_9scan_implILNS1_25lookback_scan_determinismE0ELb0ELb0ES3_N6thrust23THRUST_200600_302600_NS6detail15normal_iteratorINS9_10device_ptrIiEEEESE_iNS9_4plusIvEEiEEDaPvRmT3_T4_T5_mT6_P12ihipStream_tbENKUlT_T0_E_clISt17integral_constantIbLb1EEST_IbLb0EEEEDaSP_SQ_EUlSP_E_NS1_11comp_targetILNS1_3genE0ELNS1_11target_archE4294967295ELNS1_3gpuE0ELNS1_3repE0EEENS1_30default_config_static_selectorELNS0_4arch9wavefront6targetE0EEEvT1_
	.globl	_ZN7rocprim17ROCPRIM_400000_NS6detail17trampoline_kernelINS0_14default_configENS1_20scan_config_selectorIiEEZZNS1_9scan_implILNS1_25lookback_scan_determinismE0ELb0ELb0ES3_N6thrust23THRUST_200600_302600_NS6detail15normal_iteratorINS9_10device_ptrIiEEEESE_iNS9_4plusIvEEiEEDaPvRmT3_T4_T5_mT6_P12ihipStream_tbENKUlT_T0_E_clISt17integral_constantIbLb1EEST_IbLb0EEEEDaSP_SQ_EUlSP_E_NS1_11comp_targetILNS1_3genE0ELNS1_11target_archE4294967295ELNS1_3gpuE0ELNS1_3repE0EEENS1_30default_config_static_selectorELNS0_4arch9wavefront6targetE0EEEvT1_
	.p2align	8
	.type	_ZN7rocprim17ROCPRIM_400000_NS6detail17trampoline_kernelINS0_14default_configENS1_20scan_config_selectorIiEEZZNS1_9scan_implILNS1_25lookback_scan_determinismE0ELb0ELb0ES3_N6thrust23THRUST_200600_302600_NS6detail15normal_iteratorINS9_10device_ptrIiEEEESE_iNS9_4plusIvEEiEEDaPvRmT3_T4_T5_mT6_P12ihipStream_tbENKUlT_T0_E_clISt17integral_constantIbLb1EEST_IbLb0EEEEDaSP_SQ_EUlSP_E_NS1_11comp_targetILNS1_3genE0ELNS1_11target_archE4294967295ELNS1_3gpuE0ELNS1_3repE0EEENS1_30default_config_static_selectorELNS0_4arch9wavefront6targetE0EEEvT1_,@function
_ZN7rocprim17ROCPRIM_400000_NS6detail17trampoline_kernelINS0_14default_configENS1_20scan_config_selectorIiEEZZNS1_9scan_implILNS1_25lookback_scan_determinismE0ELb0ELb0ES3_N6thrust23THRUST_200600_302600_NS6detail15normal_iteratorINS9_10device_ptrIiEEEESE_iNS9_4plusIvEEiEEDaPvRmT3_T4_T5_mT6_P12ihipStream_tbENKUlT_T0_E_clISt17integral_constantIbLb1EEST_IbLb0EEEEDaSP_SQ_EUlSP_E_NS1_11comp_targetILNS1_3genE0ELNS1_11target_archE4294967295ELNS1_3gpuE0ELNS1_3repE0EEENS1_30default_config_static_selectorELNS0_4arch9wavefront6targetE0EEEvT1_: ; @_ZN7rocprim17ROCPRIM_400000_NS6detail17trampoline_kernelINS0_14default_configENS1_20scan_config_selectorIiEEZZNS1_9scan_implILNS1_25lookback_scan_determinismE0ELb0ELb0ES3_N6thrust23THRUST_200600_302600_NS6detail15normal_iteratorINS9_10device_ptrIiEEEESE_iNS9_4plusIvEEiEEDaPvRmT3_T4_T5_mT6_P12ihipStream_tbENKUlT_T0_E_clISt17integral_constantIbLb1EEST_IbLb0EEEEDaSP_SQ_EUlSP_E_NS1_11comp_targetILNS1_3genE0ELNS1_11target_archE4294967295ELNS1_3gpuE0ELNS1_3repE0EEENS1_30default_config_static_selectorELNS0_4arch9wavefront6targetE0EEEvT1_
; %bb.0:
	.section	.rodata,"a",@progbits
	.p2align	6, 0x0
	.amdhsa_kernel _ZN7rocprim17ROCPRIM_400000_NS6detail17trampoline_kernelINS0_14default_configENS1_20scan_config_selectorIiEEZZNS1_9scan_implILNS1_25lookback_scan_determinismE0ELb0ELb0ES3_N6thrust23THRUST_200600_302600_NS6detail15normal_iteratorINS9_10device_ptrIiEEEESE_iNS9_4plusIvEEiEEDaPvRmT3_T4_T5_mT6_P12ihipStream_tbENKUlT_T0_E_clISt17integral_constantIbLb1EEST_IbLb0EEEEDaSP_SQ_EUlSP_E_NS1_11comp_targetILNS1_3genE0ELNS1_11target_archE4294967295ELNS1_3gpuE0ELNS1_3repE0EEENS1_30default_config_static_selectorELNS0_4arch9wavefront6targetE0EEEvT1_
		.amdhsa_group_segment_fixed_size 0
		.amdhsa_private_segment_fixed_size 0
		.amdhsa_kernarg_size 96
		.amdhsa_user_sgpr_count 15
		.amdhsa_user_sgpr_dispatch_ptr 0
		.amdhsa_user_sgpr_queue_ptr 0
		.amdhsa_user_sgpr_kernarg_segment_ptr 1
		.amdhsa_user_sgpr_dispatch_id 0
		.amdhsa_user_sgpr_private_segment_size 0
		.amdhsa_wavefront_size32 1
		.amdhsa_uses_dynamic_stack 0
		.amdhsa_enable_private_segment 0
		.amdhsa_system_sgpr_workgroup_id_x 1
		.amdhsa_system_sgpr_workgroup_id_y 0
		.amdhsa_system_sgpr_workgroup_id_z 0
		.amdhsa_system_sgpr_workgroup_info 0
		.amdhsa_system_vgpr_workitem_id 0
		.amdhsa_next_free_vgpr 1
		.amdhsa_next_free_sgpr 1
		.amdhsa_reserve_vcc 0
		.amdhsa_float_round_mode_32 0
		.amdhsa_float_round_mode_16_64 0
		.amdhsa_float_denorm_mode_32 3
		.amdhsa_float_denorm_mode_16_64 3
		.amdhsa_dx10_clamp 1
		.amdhsa_ieee_mode 1
		.amdhsa_fp16_overflow 0
		.amdhsa_workgroup_processor_mode 1
		.amdhsa_memory_ordered 1
		.amdhsa_forward_progress 0
		.amdhsa_shared_vgpr_count 0
		.amdhsa_exception_fp_ieee_invalid_op 0
		.amdhsa_exception_fp_denorm_src 0
		.amdhsa_exception_fp_ieee_div_zero 0
		.amdhsa_exception_fp_ieee_overflow 0
		.amdhsa_exception_fp_ieee_underflow 0
		.amdhsa_exception_fp_ieee_inexact 0
		.amdhsa_exception_int_div_zero 0
	.end_amdhsa_kernel
	.section	.text._ZN7rocprim17ROCPRIM_400000_NS6detail17trampoline_kernelINS0_14default_configENS1_20scan_config_selectorIiEEZZNS1_9scan_implILNS1_25lookback_scan_determinismE0ELb0ELb0ES3_N6thrust23THRUST_200600_302600_NS6detail15normal_iteratorINS9_10device_ptrIiEEEESE_iNS9_4plusIvEEiEEDaPvRmT3_T4_T5_mT6_P12ihipStream_tbENKUlT_T0_E_clISt17integral_constantIbLb1EEST_IbLb0EEEEDaSP_SQ_EUlSP_E_NS1_11comp_targetILNS1_3genE0ELNS1_11target_archE4294967295ELNS1_3gpuE0ELNS1_3repE0EEENS1_30default_config_static_selectorELNS0_4arch9wavefront6targetE0EEEvT1_,"axG",@progbits,_ZN7rocprim17ROCPRIM_400000_NS6detail17trampoline_kernelINS0_14default_configENS1_20scan_config_selectorIiEEZZNS1_9scan_implILNS1_25lookback_scan_determinismE0ELb0ELb0ES3_N6thrust23THRUST_200600_302600_NS6detail15normal_iteratorINS9_10device_ptrIiEEEESE_iNS9_4plusIvEEiEEDaPvRmT3_T4_T5_mT6_P12ihipStream_tbENKUlT_T0_E_clISt17integral_constantIbLb1EEST_IbLb0EEEEDaSP_SQ_EUlSP_E_NS1_11comp_targetILNS1_3genE0ELNS1_11target_archE4294967295ELNS1_3gpuE0ELNS1_3repE0EEENS1_30default_config_static_selectorELNS0_4arch9wavefront6targetE0EEEvT1_,comdat
.Lfunc_end49:
	.size	_ZN7rocprim17ROCPRIM_400000_NS6detail17trampoline_kernelINS0_14default_configENS1_20scan_config_selectorIiEEZZNS1_9scan_implILNS1_25lookback_scan_determinismE0ELb0ELb0ES3_N6thrust23THRUST_200600_302600_NS6detail15normal_iteratorINS9_10device_ptrIiEEEESE_iNS9_4plusIvEEiEEDaPvRmT3_T4_T5_mT6_P12ihipStream_tbENKUlT_T0_E_clISt17integral_constantIbLb1EEST_IbLb0EEEEDaSP_SQ_EUlSP_E_NS1_11comp_targetILNS1_3genE0ELNS1_11target_archE4294967295ELNS1_3gpuE0ELNS1_3repE0EEENS1_30default_config_static_selectorELNS0_4arch9wavefront6targetE0EEEvT1_, .Lfunc_end49-_ZN7rocprim17ROCPRIM_400000_NS6detail17trampoline_kernelINS0_14default_configENS1_20scan_config_selectorIiEEZZNS1_9scan_implILNS1_25lookback_scan_determinismE0ELb0ELb0ES3_N6thrust23THRUST_200600_302600_NS6detail15normal_iteratorINS9_10device_ptrIiEEEESE_iNS9_4plusIvEEiEEDaPvRmT3_T4_T5_mT6_P12ihipStream_tbENKUlT_T0_E_clISt17integral_constantIbLb1EEST_IbLb0EEEEDaSP_SQ_EUlSP_E_NS1_11comp_targetILNS1_3genE0ELNS1_11target_archE4294967295ELNS1_3gpuE0ELNS1_3repE0EEENS1_30default_config_static_selectorELNS0_4arch9wavefront6targetE0EEEvT1_
                                        ; -- End function
	.section	.AMDGPU.csdata,"",@progbits
; Kernel info:
; codeLenInByte = 0
; NumSgprs: 0
; NumVgprs: 0
; ScratchSize: 0
; MemoryBound: 0
; FloatMode: 240
; IeeeMode: 1
; LDSByteSize: 0 bytes/workgroup (compile time only)
; SGPRBlocks: 0
; VGPRBlocks: 0
; NumSGPRsForWavesPerEU: 1
; NumVGPRsForWavesPerEU: 1
; Occupancy: 16
; WaveLimiterHint : 0
; COMPUTE_PGM_RSRC2:SCRATCH_EN: 0
; COMPUTE_PGM_RSRC2:USER_SGPR: 15
; COMPUTE_PGM_RSRC2:TRAP_HANDLER: 0
; COMPUTE_PGM_RSRC2:TGID_X_EN: 1
; COMPUTE_PGM_RSRC2:TGID_Y_EN: 0
; COMPUTE_PGM_RSRC2:TGID_Z_EN: 0
; COMPUTE_PGM_RSRC2:TIDIG_COMP_CNT: 0
	.section	.text._ZN7rocprim17ROCPRIM_400000_NS6detail17trampoline_kernelINS0_14default_configENS1_20scan_config_selectorIiEEZZNS1_9scan_implILNS1_25lookback_scan_determinismE0ELb0ELb0ES3_N6thrust23THRUST_200600_302600_NS6detail15normal_iteratorINS9_10device_ptrIiEEEESE_iNS9_4plusIvEEiEEDaPvRmT3_T4_T5_mT6_P12ihipStream_tbENKUlT_T0_E_clISt17integral_constantIbLb1EEST_IbLb0EEEEDaSP_SQ_EUlSP_E_NS1_11comp_targetILNS1_3genE5ELNS1_11target_archE942ELNS1_3gpuE9ELNS1_3repE0EEENS1_30default_config_static_selectorELNS0_4arch9wavefront6targetE0EEEvT1_,"axG",@progbits,_ZN7rocprim17ROCPRIM_400000_NS6detail17trampoline_kernelINS0_14default_configENS1_20scan_config_selectorIiEEZZNS1_9scan_implILNS1_25lookback_scan_determinismE0ELb0ELb0ES3_N6thrust23THRUST_200600_302600_NS6detail15normal_iteratorINS9_10device_ptrIiEEEESE_iNS9_4plusIvEEiEEDaPvRmT3_T4_T5_mT6_P12ihipStream_tbENKUlT_T0_E_clISt17integral_constantIbLb1EEST_IbLb0EEEEDaSP_SQ_EUlSP_E_NS1_11comp_targetILNS1_3genE5ELNS1_11target_archE942ELNS1_3gpuE9ELNS1_3repE0EEENS1_30default_config_static_selectorELNS0_4arch9wavefront6targetE0EEEvT1_,comdat
	.protected	_ZN7rocprim17ROCPRIM_400000_NS6detail17trampoline_kernelINS0_14default_configENS1_20scan_config_selectorIiEEZZNS1_9scan_implILNS1_25lookback_scan_determinismE0ELb0ELb0ES3_N6thrust23THRUST_200600_302600_NS6detail15normal_iteratorINS9_10device_ptrIiEEEESE_iNS9_4plusIvEEiEEDaPvRmT3_T4_T5_mT6_P12ihipStream_tbENKUlT_T0_E_clISt17integral_constantIbLb1EEST_IbLb0EEEEDaSP_SQ_EUlSP_E_NS1_11comp_targetILNS1_3genE5ELNS1_11target_archE942ELNS1_3gpuE9ELNS1_3repE0EEENS1_30default_config_static_selectorELNS0_4arch9wavefront6targetE0EEEvT1_ ; -- Begin function _ZN7rocprim17ROCPRIM_400000_NS6detail17trampoline_kernelINS0_14default_configENS1_20scan_config_selectorIiEEZZNS1_9scan_implILNS1_25lookback_scan_determinismE0ELb0ELb0ES3_N6thrust23THRUST_200600_302600_NS6detail15normal_iteratorINS9_10device_ptrIiEEEESE_iNS9_4plusIvEEiEEDaPvRmT3_T4_T5_mT6_P12ihipStream_tbENKUlT_T0_E_clISt17integral_constantIbLb1EEST_IbLb0EEEEDaSP_SQ_EUlSP_E_NS1_11comp_targetILNS1_3genE5ELNS1_11target_archE942ELNS1_3gpuE9ELNS1_3repE0EEENS1_30default_config_static_selectorELNS0_4arch9wavefront6targetE0EEEvT1_
	.globl	_ZN7rocprim17ROCPRIM_400000_NS6detail17trampoline_kernelINS0_14default_configENS1_20scan_config_selectorIiEEZZNS1_9scan_implILNS1_25lookback_scan_determinismE0ELb0ELb0ES3_N6thrust23THRUST_200600_302600_NS6detail15normal_iteratorINS9_10device_ptrIiEEEESE_iNS9_4plusIvEEiEEDaPvRmT3_T4_T5_mT6_P12ihipStream_tbENKUlT_T0_E_clISt17integral_constantIbLb1EEST_IbLb0EEEEDaSP_SQ_EUlSP_E_NS1_11comp_targetILNS1_3genE5ELNS1_11target_archE942ELNS1_3gpuE9ELNS1_3repE0EEENS1_30default_config_static_selectorELNS0_4arch9wavefront6targetE0EEEvT1_
	.p2align	8
	.type	_ZN7rocprim17ROCPRIM_400000_NS6detail17trampoline_kernelINS0_14default_configENS1_20scan_config_selectorIiEEZZNS1_9scan_implILNS1_25lookback_scan_determinismE0ELb0ELb0ES3_N6thrust23THRUST_200600_302600_NS6detail15normal_iteratorINS9_10device_ptrIiEEEESE_iNS9_4plusIvEEiEEDaPvRmT3_T4_T5_mT6_P12ihipStream_tbENKUlT_T0_E_clISt17integral_constantIbLb1EEST_IbLb0EEEEDaSP_SQ_EUlSP_E_NS1_11comp_targetILNS1_3genE5ELNS1_11target_archE942ELNS1_3gpuE9ELNS1_3repE0EEENS1_30default_config_static_selectorELNS0_4arch9wavefront6targetE0EEEvT1_,@function
_ZN7rocprim17ROCPRIM_400000_NS6detail17trampoline_kernelINS0_14default_configENS1_20scan_config_selectorIiEEZZNS1_9scan_implILNS1_25lookback_scan_determinismE0ELb0ELb0ES3_N6thrust23THRUST_200600_302600_NS6detail15normal_iteratorINS9_10device_ptrIiEEEESE_iNS9_4plusIvEEiEEDaPvRmT3_T4_T5_mT6_P12ihipStream_tbENKUlT_T0_E_clISt17integral_constantIbLb1EEST_IbLb0EEEEDaSP_SQ_EUlSP_E_NS1_11comp_targetILNS1_3genE5ELNS1_11target_archE942ELNS1_3gpuE9ELNS1_3repE0EEENS1_30default_config_static_selectorELNS0_4arch9wavefront6targetE0EEEvT1_: ; @_ZN7rocprim17ROCPRIM_400000_NS6detail17trampoline_kernelINS0_14default_configENS1_20scan_config_selectorIiEEZZNS1_9scan_implILNS1_25lookback_scan_determinismE0ELb0ELb0ES3_N6thrust23THRUST_200600_302600_NS6detail15normal_iteratorINS9_10device_ptrIiEEEESE_iNS9_4plusIvEEiEEDaPvRmT3_T4_T5_mT6_P12ihipStream_tbENKUlT_T0_E_clISt17integral_constantIbLb1EEST_IbLb0EEEEDaSP_SQ_EUlSP_E_NS1_11comp_targetILNS1_3genE5ELNS1_11target_archE942ELNS1_3gpuE9ELNS1_3repE0EEENS1_30default_config_static_selectorELNS0_4arch9wavefront6targetE0EEEvT1_
; %bb.0:
	.section	.rodata,"a",@progbits
	.p2align	6, 0x0
	.amdhsa_kernel _ZN7rocprim17ROCPRIM_400000_NS6detail17trampoline_kernelINS0_14default_configENS1_20scan_config_selectorIiEEZZNS1_9scan_implILNS1_25lookback_scan_determinismE0ELb0ELb0ES3_N6thrust23THRUST_200600_302600_NS6detail15normal_iteratorINS9_10device_ptrIiEEEESE_iNS9_4plusIvEEiEEDaPvRmT3_T4_T5_mT6_P12ihipStream_tbENKUlT_T0_E_clISt17integral_constantIbLb1EEST_IbLb0EEEEDaSP_SQ_EUlSP_E_NS1_11comp_targetILNS1_3genE5ELNS1_11target_archE942ELNS1_3gpuE9ELNS1_3repE0EEENS1_30default_config_static_selectorELNS0_4arch9wavefront6targetE0EEEvT1_
		.amdhsa_group_segment_fixed_size 0
		.amdhsa_private_segment_fixed_size 0
		.amdhsa_kernarg_size 96
		.amdhsa_user_sgpr_count 15
		.amdhsa_user_sgpr_dispatch_ptr 0
		.amdhsa_user_sgpr_queue_ptr 0
		.amdhsa_user_sgpr_kernarg_segment_ptr 1
		.amdhsa_user_sgpr_dispatch_id 0
		.amdhsa_user_sgpr_private_segment_size 0
		.amdhsa_wavefront_size32 1
		.amdhsa_uses_dynamic_stack 0
		.amdhsa_enable_private_segment 0
		.amdhsa_system_sgpr_workgroup_id_x 1
		.amdhsa_system_sgpr_workgroup_id_y 0
		.amdhsa_system_sgpr_workgroup_id_z 0
		.amdhsa_system_sgpr_workgroup_info 0
		.amdhsa_system_vgpr_workitem_id 0
		.amdhsa_next_free_vgpr 1
		.amdhsa_next_free_sgpr 1
		.amdhsa_reserve_vcc 0
		.amdhsa_float_round_mode_32 0
		.amdhsa_float_round_mode_16_64 0
		.amdhsa_float_denorm_mode_32 3
		.amdhsa_float_denorm_mode_16_64 3
		.amdhsa_dx10_clamp 1
		.amdhsa_ieee_mode 1
		.amdhsa_fp16_overflow 0
		.amdhsa_workgroup_processor_mode 1
		.amdhsa_memory_ordered 1
		.amdhsa_forward_progress 0
		.amdhsa_shared_vgpr_count 0
		.amdhsa_exception_fp_ieee_invalid_op 0
		.amdhsa_exception_fp_denorm_src 0
		.amdhsa_exception_fp_ieee_div_zero 0
		.amdhsa_exception_fp_ieee_overflow 0
		.amdhsa_exception_fp_ieee_underflow 0
		.amdhsa_exception_fp_ieee_inexact 0
		.amdhsa_exception_int_div_zero 0
	.end_amdhsa_kernel
	.section	.text._ZN7rocprim17ROCPRIM_400000_NS6detail17trampoline_kernelINS0_14default_configENS1_20scan_config_selectorIiEEZZNS1_9scan_implILNS1_25lookback_scan_determinismE0ELb0ELb0ES3_N6thrust23THRUST_200600_302600_NS6detail15normal_iteratorINS9_10device_ptrIiEEEESE_iNS9_4plusIvEEiEEDaPvRmT3_T4_T5_mT6_P12ihipStream_tbENKUlT_T0_E_clISt17integral_constantIbLb1EEST_IbLb0EEEEDaSP_SQ_EUlSP_E_NS1_11comp_targetILNS1_3genE5ELNS1_11target_archE942ELNS1_3gpuE9ELNS1_3repE0EEENS1_30default_config_static_selectorELNS0_4arch9wavefront6targetE0EEEvT1_,"axG",@progbits,_ZN7rocprim17ROCPRIM_400000_NS6detail17trampoline_kernelINS0_14default_configENS1_20scan_config_selectorIiEEZZNS1_9scan_implILNS1_25lookback_scan_determinismE0ELb0ELb0ES3_N6thrust23THRUST_200600_302600_NS6detail15normal_iteratorINS9_10device_ptrIiEEEESE_iNS9_4plusIvEEiEEDaPvRmT3_T4_T5_mT6_P12ihipStream_tbENKUlT_T0_E_clISt17integral_constantIbLb1EEST_IbLb0EEEEDaSP_SQ_EUlSP_E_NS1_11comp_targetILNS1_3genE5ELNS1_11target_archE942ELNS1_3gpuE9ELNS1_3repE0EEENS1_30default_config_static_selectorELNS0_4arch9wavefront6targetE0EEEvT1_,comdat
.Lfunc_end50:
	.size	_ZN7rocprim17ROCPRIM_400000_NS6detail17trampoline_kernelINS0_14default_configENS1_20scan_config_selectorIiEEZZNS1_9scan_implILNS1_25lookback_scan_determinismE0ELb0ELb0ES3_N6thrust23THRUST_200600_302600_NS6detail15normal_iteratorINS9_10device_ptrIiEEEESE_iNS9_4plusIvEEiEEDaPvRmT3_T4_T5_mT6_P12ihipStream_tbENKUlT_T0_E_clISt17integral_constantIbLb1EEST_IbLb0EEEEDaSP_SQ_EUlSP_E_NS1_11comp_targetILNS1_3genE5ELNS1_11target_archE942ELNS1_3gpuE9ELNS1_3repE0EEENS1_30default_config_static_selectorELNS0_4arch9wavefront6targetE0EEEvT1_, .Lfunc_end50-_ZN7rocprim17ROCPRIM_400000_NS6detail17trampoline_kernelINS0_14default_configENS1_20scan_config_selectorIiEEZZNS1_9scan_implILNS1_25lookback_scan_determinismE0ELb0ELb0ES3_N6thrust23THRUST_200600_302600_NS6detail15normal_iteratorINS9_10device_ptrIiEEEESE_iNS9_4plusIvEEiEEDaPvRmT3_T4_T5_mT6_P12ihipStream_tbENKUlT_T0_E_clISt17integral_constantIbLb1EEST_IbLb0EEEEDaSP_SQ_EUlSP_E_NS1_11comp_targetILNS1_3genE5ELNS1_11target_archE942ELNS1_3gpuE9ELNS1_3repE0EEENS1_30default_config_static_selectorELNS0_4arch9wavefront6targetE0EEEvT1_
                                        ; -- End function
	.section	.AMDGPU.csdata,"",@progbits
; Kernel info:
; codeLenInByte = 0
; NumSgprs: 0
; NumVgprs: 0
; ScratchSize: 0
; MemoryBound: 0
; FloatMode: 240
; IeeeMode: 1
; LDSByteSize: 0 bytes/workgroup (compile time only)
; SGPRBlocks: 0
; VGPRBlocks: 0
; NumSGPRsForWavesPerEU: 1
; NumVGPRsForWavesPerEU: 1
; Occupancy: 16
; WaveLimiterHint : 0
; COMPUTE_PGM_RSRC2:SCRATCH_EN: 0
; COMPUTE_PGM_RSRC2:USER_SGPR: 15
; COMPUTE_PGM_RSRC2:TRAP_HANDLER: 0
; COMPUTE_PGM_RSRC2:TGID_X_EN: 1
; COMPUTE_PGM_RSRC2:TGID_Y_EN: 0
; COMPUTE_PGM_RSRC2:TGID_Z_EN: 0
; COMPUTE_PGM_RSRC2:TIDIG_COMP_CNT: 0
	.section	.text._ZN7rocprim17ROCPRIM_400000_NS6detail17trampoline_kernelINS0_14default_configENS1_20scan_config_selectorIiEEZZNS1_9scan_implILNS1_25lookback_scan_determinismE0ELb0ELb0ES3_N6thrust23THRUST_200600_302600_NS6detail15normal_iteratorINS9_10device_ptrIiEEEESE_iNS9_4plusIvEEiEEDaPvRmT3_T4_T5_mT6_P12ihipStream_tbENKUlT_T0_E_clISt17integral_constantIbLb1EEST_IbLb0EEEEDaSP_SQ_EUlSP_E_NS1_11comp_targetILNS1_3genE4ELNS1_11target_archE910ELNS1_3gpuE8ELNS1_3repE0EEENS1_30default_config_static_selectorELNS0_4arch9wavefront6targetE0EEEvT1_,"axG",@progbits,_ZN7rocprim17ROCPRIM_400000_NS6detail17trampoline_kernelINS0_14default_configENS1_20scan_config_selectorIiEEZZNS1_9scan_implILNS1_25lookback_scan_determinismE0ELb0ELb0ES3_N6thrust23THRUST_200600_302600_NS6detail15normal_iteratorINS9_10device_ptrIiEEEESE_iNS9_4plusIvEEiEEDaPvRmT3_T4_T5_mT6_P12ihipStream_tbENKUlT_T0_E_clISt17integral_constantIbLb1EEST_IbLb0EEEEDaSP_SQ_EUlSP_E_NS1_11comp_targetILNS1_3genE4ELNS1_11target_archE910ELNS1_3gpuE8ELNS1_3repE0EEENS1_30default_config_static_selectorELNS0_4arch9wavefront6targetE0EEEvT1_,comdat
	.protected	_ZN7rocprim17ROCPRIM_400000_NS6detail17trampoline_kernelINS0_14default_configENS1_20scan_config_selectorIiEEZZNS1_9scan_implILNS1_25lookback_scan_determinismE0ELb0ELb0ES3_N6thrust23THRUST_200600_302600_NS6detail15normal_iteratorINS9_10device_ptrIiEEEESE_iNS9_4plusIvEEiEEDaPvRmT3_T4_T5_mT6_P12ihipStream_tbENKUlT_T0_E_clISt17integral_constantIbLb1EEST_IbLb0EEEEDaSP_SQ_EUlSP_E_NS1_11comp_targetILNS1_3genE4ELNS1_11target_archE910ELNS1_3gpuE8ELNS1_3repE0EEENS1_30default_config_static_selectorELNS0_4arch9wavefront6targetE0EEEvT1_ ; -- Begin function _ZN7rocprim17ROCPRIM_400000_NS6detail17trampoline_kernelINS0_14default_configENS1_20scan_config_selectorIiEEZZNS1_9scan_implILNS1_25lookback_scan_determinismE0ELb0ELb0ES3_N6thrust23THRUST_200600_302600_NS6detail15normal_iteratorINS9_10device_ptrIiEEEESE_iNS9_4plusIvEEiEEDaPvRmT3_T4_T5_mT6_P12ihipStream_tbENKUlT_T0_E_clISt17integral_constantIbLb1EEST_IbLb0EEEEDaSP_SQ_EUlSP_E_NS1_11comp_targetILNS1_3genE4ELNS1_11target_archE910ELNS1_3gpuE8ELNS1_3repE0EEENS1_30default_config_static_selectorELNS0_4arch9wavefront6targetE0EEEvT1_
	.globl	_ZN7rocprim17ROCPRIM_400000_NS6detail17trampoline_kernelINS0_14default_configENS1_20scan_config_selectorIiEEZZNS1_9scan_implILNS1_25lookback_scan_determinismE0ELb0ELb0ES3_N6thrust23THRUST_200600_302600_NS6detail15normal_iteratorINS9_10device_ptrIiEEEESE_iNS9_4plusIvEEiEEDaPvRmT3_T4_T5_mT6_P12ihipStream_tbENKUlT_T0_E_clISt17integral_constantIbLb1EEST_IbLb0EEEEDaSP_SQ_EUlSP_E_NS1_11comp_targetILNS1_3genE4ELNS1_11target_archE910ELNS1_3gpuE8ELNS1_3repE0EEENS1_30default_config_static_selectorELNS0_4arch9wavefront6targetE0EEEvT1_
	.p2align	8
	.type	_ZN7rocprim17ROCPRIM_400000_NS6detail17trampoline_kernelINS0_14default_configENS1_20scan_config_selectorIiEEZZNS1_9scan_implILNS1_25lookback_scan_determinismE0ELb0ELb0ES3_N6thrust23THRUST_200600_302600_NS6detail15normal_iteratorINS9_10device_ptrIiEEEESE_iNS9_4plusIvEEiEEDaPvRmT3_T4_T5_mT6_P12ihipStream_tbENKUlT_T0_E_clISt17integral_constantIbLb1EEST_IbLb0EEEEDaSP_SQ_EUlSP_E_NS1_11comp_targetILNS1_3genE4ELNS1_11target_archE910ELNS1_3gpuE8ELNS1_3repE0EEENS1_30default_config_static_selectorELNS0_4arch9wavefront6targetE0EEEvT1_,@function
_ZN7rocprim17ROCPRIM_400000_NS6detail17trampoline_kernelINS0_14default_configENS1_20scan_config_selectorIiEEZZNS1_9scan_implILNS1_25lookback_scan_determinismE0ELb0ELb0ES3_N6thrust23THRUST_200600_302600_NS6detail15normal_iteratorINS9_10device_ptrIiEEEESE_iNS9_4plusIvEEiEEDaPvRmT3_T4_T5_mT6_P12ihipStream_tbENKUlT_T0_E_clISt17integral_constantIbLb1EEST_IbLb0EEEEDaSP_SQ_EUlSP_E_NS1_11comp_targetILNS1_3genE4ELNS1_11target_archE910ELNS1_3gpuE8ELNS1_3repE0EEENS1_30default_config_static_selectorELNS0_4arch9wavefront6targetE0EEEvT1_: ; @_ZN7rocprim17ROCPRIM_400000_NS6detail17trampoline_kernelINS0_14default_configENS1_20scan_config_selectorIiEEZZNS1_9scan_implILNS1_25lookback_scan_determinismE0ELb0ELb0ES3_N6thrust23THRUST_200600_302600_NS6detail15normal_iteratorINS9_10device_ptrIiEEEESE_iNS9_4plusIvEEiEEDaPvRmT3_T4_T5_mT6_P12ihipStream_tbENKUlT_T0_E_clISt17integral_constantIbLb1EEST_IbLb0EEEEDaSP_SQ_EUlSP_E_NS1_11comp_targetILNS1_3genE4ELNS1_11target_archE910ELNS1_3gpuE8ELNS1_3repE0EEENS1_30default_config_static_selectorELNS0_4arch9wavefront6targetE0EEEvT1_
; %bb.0:
	.section	.rodata,"a",@progbits
	.p2align	6, 0x0
	.amdhsa_kernel _ZN7rocprim17ROCPRIM_400000_NS6detail17trampoline_kernelINS0_14default_configENS1_20scan_config_selectorIiEEZZNS1_9scan_implILNS1_25lookback_scan_determinismE0ELb0ELb0ES3_N6thrust23THRUST_200600_302600_NS6detail15normal_iteratorINS9_10device_ptrIiEEEESE_iNS9_4plusIvEEiEEDaPvRmT3_T4_T5_mT6_P12ihipStream_tbENKUlT_T0_E_clISt17integral_constantIbLb1EEST_IbLb0EEEEDaSP_SQ_EUlSP_E_NS1_11comp_targetILNS1_3genE4ELNS1_11target_archE910ELNS1_3gpuE8ELNS1_3repE0EEENS1_30default_config_static_selectorELNS0_4arch9wavefront6targetE0EEEvT1_
		.amdhsa_group_segment_fixed_size 0
		.amdhsa_private_segment_fixed_size 0
		.amdhsa_kernarg_size 96
		.amdhsa_user_sgpr_count 15
		.amdhsa_user_sgpr_dispatch_ptr 0
		.amdhsa_user_sgpr_queue_ptr 0
		.amdhsa_user_sgpr_kernarg_segment_ptr 1
		.amdhsa_user_sgpr_dispatch_id 0
		.amdhsa_user_sgpr_private_segment_size 0
		.amdhsa_wavefront_size32 1
		.amdhsa_uses_dynamic_stack 0
		.amdhsa_enable_private_segment 0
		.amdhsa_system_sgpr_workgroup_id_x 1
		.amdhsa_system_sgpr_workgroup_id_y 0
		.amdhsa_system_sgpr_workgroup_id_z 0
		.amdhsa_system_sgpr_workgroup_info 0
		.amdhsa_system_vgpr_workitem_id 0
		.amdhsa_next_free_vgpr 1
		.amdhsa_next_free_sgpr 1
		.amdhsa_reserve_vcc 0
		.amdhsa_float_round_mode_32 0
		.amdhsa_float_round_mode_16_64 0
		.amdhsa_float_denorm_mode_32 3
		.amdhsa_float_denorm_mode_16_64 3
		.amdhsa_dx10_clamp 1
		.amdhsa_ieee_mode 1
		.amdhsa_fp16_overflow 0
		.amdhsa_workgroup_processor_mode 1
		.amdhsa_memory_ordered 1
		.amdhsa_forward_progress 0
		.amdhsa_shared_vgpr_count 0
		.amdhsa_exception_fp_ieee_invalid_op 0
		.amdhsa_exception_fp_denorm_src 0
		.amdhsa_exception_fp_ieee_div_zero 0
		.amdhsa_exception_fp_ieee_overflow 0
		.amdhsa_exception_fp_ieee_underflow 0
		.amdhsa_exception_fp_ieee_inexact 0
		.amdhsa_exception_int_div_zero 0
	.end_amdhsa_kernel
	.section	.text._ZN7rocprim17ROCPRIM_400000_NS6detail17trampoline_kernelINS0_14default_configENS1_20scan_config_selectorIiEEZZNS1_9scan_implILNS1_25lookback_scan_determinismE0ELb0ELb0ES3_N6thrust23THRUST_200600_302600_NS6detail15normal_iteratorINS9_10device_ptrIiEEEESE_iNS9_4plusIvEEiEEDaPvRmT3_T4_T5_mT6_P12ihipStream_tbENKUlT_T0_E_clISt17integral_constantIbLb1EEST_IbLb0EEEEDaSP_SQ_EUlSP_E_NS1_11comp_targetILNS1_3genE4ELNS1_11target_archE910ELNS1_3gpuE8ELNS1_3repE0EEENS1_30default_config_static_selectorELNS0_4arch9wavefront6targetE0EEEvT1_,"axG",@progbits,_ZN7rocprim17ROCPRIM_400000_NS6detail17trampoline_kernelINS0_14default_configENS1_20scan_config_selectorIiEEZZNS1_9scan_implILNS1_25lookback_scan_determinismE0ELb0ELb0ES3_N6thrust23THRUST_200600_302600_NS6detail15normal_iteratorINS9_10device_ptrIiEEEESE_iNS9_4plusIvEEiEEDaPvRmT3_T4_T5_mT6_P12ihipStream_tbENKUlT_T0_E_clISt17integral_constantIbLb1EEST_IbLb0EEEEDaSP_SQ_EUlSP_E_NS1_11comp_targetILNS1_3genE4ELNS1_11target_archE910ELNS1_3gpuE8ELNS1_3repE0EEENS1_30default_config_static_selectorELNS0_4arch9wavefront6targetE0EEEvT1_,comdat
.Lfunc_end51:
	.size	_ZN7rocprim17ROCPRIM_400000_NS6detail17trampoline_kernelINS0_14default_configENS1_20scan_config_selectorIiEEZZNS1_9scan_implILNS1_25lookback_scan_determinismE0ELb0ELb0ES3_N6thrust23THRUST_200600_302600_NS6detail15normal_iteratorINS9_10device_ptrIiEEEESE_iNS9_4plusIvEEiEEDaPvRmT3_T4_T5_mT6_P12ihipStream_tbENKUlT_T0_E_clISt17integral_constantIbLb1EEST_IbLb0EEEEDaSP_SQ_EUlSP_E_NS1_11comp_targetILNS1_3genE4ELNS1_11target_archE910ELNS1_3gpuE8ELNS1_3repE0EEENS1_30default_config_static_selectorELNS0_4arch9wavefront6targetE0EEEvT1_, .Lfunc_end51-_ZN7rocprim17ROCPRIM_400000_NS6detail17trampoline_kernelINS0_14default_configENS1_20scan_config_selectorIiEEZZNS1_9scan_implILNS1_25lookback_scan_determinismE0ELb0ELb0ES3_N6thrust23THRUST_200600_302600_NS6detail15normal_iteratorINS9_10device_ptrIiEEEESE_iNS9_4plusIvEEiEEDaPvRmT3_T4_T5_mT6_P12ihipStream_tbENKUlT_T0_E_clISt17integral_constantIbLb1EEST_IbLb0EEEEDaSP_SQ_EUlSP_E_NS1_11comp_targetILNS1_3genE4ELNS1_11target_archE910ELNS1_3gpuE8ELNS1_3repE0EEENS1_30default_config_static_selectorELNS0_4arch9wavefront6targetE0EEEvT1_
                                        ; -- End function
	.section	.AMDGPU.csdata,"",@progbits
; Kernel info:
; codeLenInByte = 0
; NumSgprs: 0
; NumVgprs: 0
; ScratchSize: 0
; MemoryBound: 0
; FloatMode: 240
; IeeeMode: 1
; LDSByteSize: 0 bytes/workgroup (compile time only)
; SGPRBlocks: 0
; VGPRBlocks: 0
; NumSGPRsForWavesPerEU: 1
; NumVGPRsForWavesPerEU: 1
; Occupancy: 16
; WaveLimiterHint : 0
; COMPUTE_PGM_RSRC2:SCRATCH_EN: 0
; COMPUTE_PGM_RSRC2:USER_SGPR: 15
; COMPUTE_PGM_RSRC2:TRAP_HANDLER: 0
; COMPUTE_PGM_RSRC2:TGID_X_EN: 1
; COMPUTE_PGM_RSRC2:TGID_Y_EN: 0
; COMPUTE_PGM_RSRC2:TGID_Z_EN: 0
; COMPUTE_PGM_RSRC2:TIDIG_COMP_CNT: 0
	.section	.text._ZN7rocprim17ROCPRIM_400000_NS6detail17trampoline_kernelINS0_14default_configENS1_20scan_config_selectorIiEEZZNS1_9scan_implILNS1_25lookback_scan_determinismE0ELb0ELb0ES3_N6thrust23THRUST_200600_302600_NS6detail15normal_iteratorINS9_10device_ptrIiEEEESE_iNS9_4plusIvEEiEEDaPvRmT3_T4_T5_mT6_P12ihipStream_tbENKUlT_T0_E_clISt17integral_constantIbLb1EEST_IbLb0EEEEDaSP_SQ_EUlSP_E_NS1_11comp_targetILNS1_3genE3ELNS1_11target_archE908ELNS1_3gpuE7ELNS1_3repE0EEENS1_30default_config_static_selectorELNS0_4arch9wavefront6targetE0EEEvT1_,"axG",@progbits,_ZN7rocprim17ROCPRIM_400000_NS6detail17trampoline_kernelINS0_14default_configENS1_20scan_config_selectorIiEEZZNS1_9scan_implILNS1_25lookback_scan_determinismE0ELb0ELb0ES3_N6thrust23THRUST_200600_302600_NS6detail15normal_iteratorINS9_10device_ptrIiEEEESE_iNS9_4plusIvEEiEEDaPvRmT3_T4_T5_mT6_P12ihipStream_tbENKUlT_T0_E_clISt17integral_constantIbLb1EEST_IbLb0EEEEDaSP_SQ_EUlSP_E_NS1_11comp_targetILNS1_3genE3ELNS1_11target_archE908ELNS1_3gpuE7ELNS1_3repE0EEENS1_30default_config_static_selectorELNS0_4arch9wavefront6targetE0EEEvT1_,comdat
	.protected	_ZN7rocprim17ROCPRIM_400000_NS6detail17trampoline_kernelINS0_14default_configENS1_20scan_config_selectorIiEEZZNS1_9scan_implILNS1_25lookback_scan_determinismE0ELb0ELb0ES3_N6thrust23THRUST_200600_302600_NS6detail15normal_iteratorINS9_10device_ptrIiEEEESE_iNS9_4plusIvEEiEEDaPvRmT3_T4_T5_mT6_P12ihipStream_tbENKUlT_T0_E_clISt17integral_constantIbLb1EEST_IbLb0EEEEDaSP_SQ_EUlSP_E_NS1_11comp_targetILNS1_3genE3ELNS1_11target_archE908ELNS1_3gpuE7ELNS1_3repE0EEENS1_30default_config_static_selectorELNS0_4arch9wavefront6targetE0EEEvT1_ ; -- Begin function _ZN7rocprim17ROCPRIM_400000_NS6detail17trampoline_kernelINS0_14default_configENS1_20scan_config_selectorIiEEZZNS1_9scan_implILNS1_25lookback_scan_determinismE0ELb0ELb0ES3_N6thrust23THRUST_200600_302600_NS6detail15normal_iteratorINS9_10device_ptrIiEEEESE_iNS9_4plusIvEEiEEDaPvRmT3_T4_T5_mT6_P12ihipStream_tbENKUlT_T0_E_clISt17integral_constantIbLb1EEST_IbLb0EEEEDaSP_SQ_EUlSP_E_NS1_11comp_targetILNS1_3genE3ELNS1_11target_archE908ELNS1_3gpuE7ELNS1_3repE0EEENS1_30default_config_static_selectorELNS0_4arch9wavefront6targetE0EEEvT1_
	.globl	_ZN7rocprim17ROCPRIM_400000_NS6detail17trampoline_kernelINS0_14default_configENS1_20scan_config_selectorIiEEZZNS1_9scan_implILNS1_25lookback_scan_determinismE0ELb0ELb0ES3_N6thrust23THRUST_200600_302600_NS6detail15normal_iteratorINS9_10device_ptrIiEEEESE_iNS9_4plusIvEEiEEDaPvRmT3_T4_T5_mT6_P12ihipStream_tbENKUlT_T0_E_clISt17integral_constantIbLb1EEST_IbLb0EEEEDaSP_SQ_EUlSP_E_NS1_11comp_targetILNS1_3genE3ELNS1_11target_archE908ELNS1_3gpuE7ELNS1_3repE0EEENS1_30default_config_static_selectorELNS0_4arch9wavefront6targetE0EEEvT1_
	.p2align	8
	.type	_ZN7rocprim17ROCPRIM_400000_NS6detail17trampoline_kernelINS0_14default_configENS1_20scan_config_selectorIiEEZZNS1_9scan_implILNS1_25lookback_scan_determinismE0ELb0ELb0ES3_N6thrust23THRUST_200600_302600_NS6detail15normal_iteratorINS9_10device_ptrIiEEEESE_iNS9_4plusIvEEiEEDaPvRmT3_T4_T5_mT6_P12ihipStream_tbENKUlT_T0_E_clISt17integral_constantIbLb1EEST_IbLb0EEEEDaSP_SQ_EUlSP_E_NS1_11comp_targetILNS1_3genE3ELNS1_11target_archE908ELNS1_3gpuE7ELNS1_3repE0EEENS1_30default_config_static_selectorELNS0_4arch9wavefront6targetE0EEEvT1_,@function
_ZN7rocprim17ROCPRIM_400000_NS6detail17trampoline_kernelINS0_14default_configENS1_20scan_config_selectorIiEEZZNS1_9scan_implILNS1_25lookback_scan_determinismE0ELb0ELb0ES3_N6thrust23THRUST_200600_302600_NS6detail15normal_iteratorINS9_10device_ptrIiEEEESE_iNS9_4plusIvEEiEEDaPvRmT3_T4_T5_mT6_P12ihipStream_tbENKUlT_T0_E_clISt17integral_constantIbLb1EEST_IbLb0EEEEDaSP_SQ_EUlSP_E_NS1_11comp_targetILNS1_3genE3ELNS1_11target_archE908ELNS1_3gpuE7ELNS1_3repE0EEENS1_30default_config_static_selectorELNS0_4arch9wavefront6targetE0EEEvT1_: ; @_ZN7rocprim17ROCPRIM_400000_NS6detail17trampoline_kernelINS0_14default_configENS1_20scan_config_selectorIiEEZZNS1_9scan_implILNS1_25lookback_scan_determinismE0ELb0ELb0ES3_N6thrust23THRUST_200600_302600_NS6detail15normal_iteratorINS9_10device_ptrIiEEEESE_iNS9_4plusIvEEiEEDaPvRmT3_T4_T5_mT6_P12ihipStream_tbENKUlT_T0_E_clISt17integral_constantIbLb1EEST_IbLb0EEEEDaSP_SQ_EUlSP_E_NS1_11comp_targetILNS1_3genE3ELNS1_11target_archE908ELNS1_3gpuE7ELNS1_3repE0EEENS1_30default_config_static_selectorELNS0_4arch9wavefront6targetE0EEEvT1_
; %bb.0:
	.section	.rodata,"a",@progbits
	.p2align	6, 0x0
	.amdhsa_kernel _ZN7rocprim17ROCPRIM_400000_NS6detail17trampoline_kernelINS0_14default_configENS1_20scan_config_selectorIiEEZZNS1_9scan_implILNS1_25lookback_scan_determinismE0ELb0ELb0ES3_N6thrust23THRUST_200600_302600_NS6detail15normal_iteratorINS9_10device_ptrIiEEEESE_iNS9_4plusIvEEiEEDaPvRmT3_T4_T5_mT6_P12ihipStream_tbENKUlT_T0_E_clISt17integral_constantIbLb1EEST_IbLb0EEEEDaSP_SQ_EUlSP_E_NS1_11comp_targetILNS1_3genE3ELNS1_11target_archE908ELNS1_3gpuE7ELNS1_3repE0EEENS1_30default_config_static_selectorELNS0_4arch9wavefront6targetE0EEEvT1_
		.amdhsa_group_segment_fixed_size 0
		.amdhsa_private_segment_fixed_size 0
		.amdhsa_kernarg_size 96
		.amdhsa_user_sgpr_count 15
		.amdhsa_user_sgpr_dispatch_ptr 0
		.amdhsa_user_sgpr_queue_ptr 0
		.amdhsa_user_sgpr_kernarg_segment_ptr 1
		.amdhsa_user_sgpr_dispatch_id 0
		.amdhsa_user_sgpr_private_segment_size 0
		.amdhsa_wavefront_size32 1
		.amdhsa_uses_dynamic_stack 0
		.amdhsa_enable_private_segment 0
		.amdhsa_system_sgpr_workgroup_id_x 1
		.amdhsa_system_sgpr_workgroup_id_y 0
		.amdhsa_system_sgpr_workgroup_id_z 0
		.amdhsa_system_sgpr_workgroup_info 0
		.amdhsa_system_vgpr_workitem_id 0
		.amdhsa_next_free_vgpr 1
		.amdhsa_next_free_sgpr 1
		.amdhsa_reserve_vcc 0
		.amdhsa_float_round_mode_32 0
		.amdhsa_float_round_mode_16_64 0
		.amdhsa_float_denorm_mode_32 3
		.amdhsa_float_denorm_mode_16_64 3
		.amdhsa_dx10_clamp 1
		.amdhsa_ieee_mode 1
		.amdhsa_fp16_overflow 0
		.amdhsa_workgroup_processor_mode 1
		.amdhsa_memory_ordered 1
		.amdhsa_forward_progress 0
		.amdhsa_shared_vgpr_count 0
		.amdhsa_exception_fp_ieee_invalid_op 0
		.amdhsa_exception_fp_denorm_src 0
		.amdhsa_exception_fp_ieee_div_zero 0
		.amdhsa_exception_fp_ieee_overflow 0
		.amdhsa_exception_fp_ieee_underflow 0
		.amdhsa_exception_fp_ieee_inexact 0
		.amdhsa_exception_int_div_zero 0
	.end_amdhsa_kernel
	.section	.text._ZN7rocprim17ROCPRIM_400000_NS6detail17trampoline_kernelINS0_14default_configENS1_20scan_config_selectorIiEEZZNS1_9scan_implILNS1_25lookback_scan_determinismE0ELb0ELb0ES3_N6thrust23THRUST_200600_302600_NS6detail15normal_iteratorINS9_10device_ptrIiEEEESE_iNS9_4plusIvEEiEEDaPvRmT3_T4_T5_mT6_P12ihipStream_tbENKUlT_T0_E_clISt17integral_constantIbLb1EEST_IbLb0EEEEDaSP_SQ_EUlSP_E_NS1_11comp_targetILNS1_3genE3ELNS1_11target_archE908ELNS1_3gpuE7ELNS1_3repE0EEENS1_30default_config_static_selectorELNS0_4arch9wavefront6targetE0EEEvT1_,"axG",@progbits,_ZN7rocprim17ROCPRIM_400000_NS6detail17trampoline_kernelINS0_14default_configENS1_20scan_config_selectorIiEEZZNS1_9scan_implILNS1_25lookback_scan_determinismE0ELb0ELb0ES3_N6thrust23THRUST_200600_302600_NS6detail15normal_iteratorINS9_10device_ptrIiEEEESE_iNS9_4plusIvEEiEEDaPvRmT3_T4_T5_mT6_P12ihipStream_tbENKUlT_T0_E_clISt17integral_constantIbLb1EEST_IbLb0EEEEDaSP_SQ_EUlSP_E_NS1_11comp_targetILNS1_3genE3ELNS1_11target_archE908ELNS1_3gpuE7ELNS1_3repE0EEENS1_30default_config_static_selectorELNS0_4arch9wavefront6targetE0EEEvT1_,comdat
.Lfunc_end52:
	.size	_ZN7rocprim17ROCPRIM_400000_NS6detail17trampoline_kernelINS0_14default_configENS1_20scan_config_selectorIiEEZZNS1_9scan_implILNS1_25lookback_scan_determinismE0ELb0ELb0ES3_N6thrust23THRUST_200600_302600_NS6detail15normal_iteratorINS9_10device_ptrIiEEEESE_iNS9_4plusIvEEiEEDaPvRmT3_T4_T5_mT6_P12ihipStream_tbENKUlT_T0_E_clISt17integral_constantIbLb1EEST_IbLb0EEEEDaSP_SQ_EUlSP_E_NS1_11comp_targetILNS1_3genE3ELNS1_11target_archE908ELNS1_3gpuE7ELNS1_3repE0EEENS1_30default_config_static_selectorELNS0_4arch9wavefront6targetE0EEEvT1_, .Lfunc_end52-_ZN7rocprim17ROCPRIM_400000_NS6detail17trampoline_kernelINS0_14default_configENS1_20scan_config_selectorIiEEZZNS1_9scan_implILNS1_25lookback_scan_determinismE0ELb0ELb0ES3_N6thrust23THRUST_200600_302600_NS6detail15normal_iteratorINS9_10device_ptrIiEEEESE_iNS9_4plusIvEEiEEDaPvRmT3_T4_T5_mT6_P12ihipStream_tbENKUlT_T0_E_clISt17integral_constantIbLb1EEST_IbLb0EEEEDaSP_SQ_EUlSP_E_NS1_11comp_targetILNS1_3genE3ELNS1_11target_archE908ELNS1_3gpuE7ELNS1_3repE0EEENS1_30default_config_static_selectorELNS0_4arch9wavefront6targetE0EEEvT1_
                                        ; -- End function
	.section	.AMDGPU.csdata,"",@progbits
; Kernel info:
; codeLenInByte = 0
; NumSgprs: 0
; NumVgprs: 0
; ScratchSize: 0
; MemoryBound: 0
; FloatMode: 240
; IeeeMode: 1
; LDSByteSize: 0 bytes/workgroup (compile time only)
; SGPRBlocks: 0
; VGPRBlocks: 0
; NumSGPRsForWavesPerEU: 1
; NumVGPRsForWavesPerEU: 1
; Occupancy: 16
; WaveLimiterHint : 0
; COMPUTE_PGM_RSRC2:SCRATCH_EN: 0
; COMPUTE_PGM_RSRC2:USER_SGPR: 15
; COMPUTE_PGM_RSRC2:TRAP_HANDLER: 0
; COMPUTE_PGM_RSRC2:TGID_X_EN: 1
; COMPUTE_PGM_RSRC2:TGID_Y_EN: 0
; COMPUTE_PGM_RSRC2:TGID_Z_EN: 0
; COMPUTE_PGM_RSRC2:TIDIG_COMP_CNT: 0
	.section	.text._ZN7rocprim17ROCPRIM_400000_NS6detail17trampoline_kernelINS0_14default_configENS1_20scan_config_selectorIiEEZZNS1_9scan_implILNS1_25lookback_scan_determinismE0ELb0ELb0ES3_N6thrust23THRUST_200600_302600_NS6detail15normal_iteratorINS9_10device_ptrIiEEEESE_iNS9_4plusIvEEiEEDaPvRmT3_T4_T5_mT6_P12ihipStream_tbENKUlT_T0_E_clISt17integral_constantIbLb1EEST_IbLb0EEEEDaSP_SQ_EUlSP_E_NS1_11comp_targetILNS1_3genE2ELNS1_11target_archE906ELNS1_3gpuE6ELNS1_3repE0EEENS1_30default_config_static_selectorELNS0_4arch9wavefront6targetE0EEEvT1_,"axG",@progbits,_ZN7rocprim17ROCPRIM_400000_NS6detail17trampoline_kernelINS0_14default_configENS1_20scan_config_selectorIiEEZZNS1_9scan_implILNS1_25lookback_scan_determinismE0ELb0ELb0ES3_N6thrust23THRUST_200600_302600_NS6detail15normal_iteratorINS9_10device_ptrIiEEEESE_iNS9_4plusIvEEiEEDaPvRmT3_T4_T5_mT6_P12ihipStream_tbENKUlT_T0_E_clISt17integral_constantIbLb1EEST_IbLb0EEEEDaSP_SQ_EUlSP_E_NS1_11comp_targetILNS1_3genE2ELNS1_11target_archE906ELNS1_3gpuE6ELNS1_3repE0EEENS1_30default_config_static_selectorELNS0_4arch9wavefront6targetE0EEEvT1_,comdat
	.protected	_ZN7rocprim17ROCPRIM_400000_NS6detail17trampoline_kernelINS0_14default_configENS1_20scan_config_selectorIiEEZZNS1_9scan_implILNS1_25lookback_scan_determinismE0ELb0ELb0ES3_N6thrust23THRUST_200600_302600_NS6detail15normal_iteratorINS9_10device_ptrIiEEEESE_iNS9_4plusIvEEiEEDaPvRmT3_T4_T5_mT6_P12ihipStream_tbENKUlT_T0_E_clISt17integral_constantIbLb1EEST_IbLb0EEEEDaSP_SQ_EUlSP_E_NS1_11comp_targetILNS1_3genE2ELNS1_11target_archE906ELNS1_3gpuE6ELNS1_3repE0EEENS1_30default_config_static_selectorELNS0_4arch9wavefront6targetE0EEEvT1_ ; -- Begin function _ZN7rocprim17ROCPRIM_400000_NS6detail17trampoline_kernelINS0_14default_configENS1_20scan_config_selectorIiEEZZNS1_9scan_implILNS1_25lookback_scan_determinismE0ELb0ELb0ES3_N6thrust23THRUST_200600_302600_NS6detail15normal_iteratorINS9_10device_ptrIiEEEESE_iNS9_4plusIvEEiEEDaPvRmT3_T4_T5_mT6_P12ihipStream_tbENKUlT_T0_E_clISt17integral_constantIbLb1EEST_IbLb0EEEEDaSP_SQ_EUlSP_E_NS1_11comp_targetILNS1_3genE2ELNS1_11target_archE906ELNS1_3gpuE6ELNS1_3repE0EEENS1_30default_config_static_selectorELNS0_4arch9wavefront6targetE0EEEvT1_
	.globl	_ZN7rocprim17ROCPRIM_400000_NS6detail17trampoline_kernelINS0_14default_configENS1_20scan_config_selectorIiEEZZNS1_9scan_implILNS1_25lookback_scan_determinismE0ELb0ELb0ES3_N6thrust23THRUST_200600_302600_NS6detail15normal_iteratorINS9_10device_ptrIiEEEESE_iNS9_4plusIvEEiEEDaPvRmT3_T4_T5_mT6_P12ihipStream_tbENKUlT_T0_E_clISt17integral_constantIbLb1EEST_IbLb0EEEEDaSP_SQ_EUlSP_E_NS1_11comp_targetILNS1_3genE2ELNS1_11target_archE906ELNS1_3gpuE6ELNS1_3repE0EEENS1_30default_config_static_selectorELNS0_4arch9wavefront6targetE0EEEvT1_
	.p2align	8
	.type	_ZN7rocprim17ROCPRIM_400000_NS6detail17trampoline_kernelINS0_14default_configENS1_20scan_config_selectorIiEEZZNS1_9scan_implILNS1_25lookback_scan_determinismE0ELb0ELb0ES3_N6thrust23THRUST_200600_302600_NS6detail15normal_iteratorINS9_10device_ptrIiEEEESE_iNS9_4plusIvEEiEEDaPvRmT3_T4_T5_mT6_P12ihipStream_tbENKUlT_T0_E_clISt17integral_constantIbLb1EEST_IbLb0EEEEDaSP_SQ_EUlSP_E_NS1_11comp_targetILNS1_3genE2ELNS1_11target_archE906ELNS1_3gpuE6ELNS1_3repE0EEENS1_30default_config_static_selectorELNS0_4arch9wavefront6targetE0EEEvT1_,@function
_ZN7rocprim17ROCPRIM_400000_NS6detail17trampoline_kernelINS0_14default_configENS1_20scan_config_selectorIiEEZZNS1_9scan_implILNS1_25lookback_scan_determinismE0ELb0ELb0ES3_N6thrust23THRUST_200600_302600_NS6detail15normal_iteratorINS9_10device_ptrIiEEEESE_iNS9_4plusIvEEiEEDaPvRmT3_T4_T5_mT6_P12ihipStream_tbENKUlT_T0_E_clISt17integral_constantIbLb1EEST_IbLb0EEEEDaSP_SQ_EUlSP_E_NS1_11comp_targetILNS1_3genE2ELNS1_11target_archE906ELNS1_3gpuE6ELNS1_3repE0EEENS1_30default_config_static_selectorELNS0_4arch9wavefront6targetE0EEEvT1_: ; @_ZN7rocprim17ROCPRIM_400000_NS6detail17trampoline_kernelINS0_14default_configENS1_20scan_config_selectorIiEEZZNS1_9scan_implILNS1_25lookback_scan_determinismE0ELb0ELb0ES3_N6thrust23THRUST_200600_302600_NS6detail15normal_iteratorINS9_10device_ptrIiEEEESE_iNS9_4plusIvEEiEEDaPvRmT3_T4_T5_mT6_P12ihipStream_tbENKUlT_T0_E_clISt17integral_constantIbLb1EEST_IbLb0EEEEDaSP_SQ_EUlSP_E_NS1_11comp_targetILNS1_3genE2ELNS1_11target_archE906ELNS1_3gpuE6ELNS1_3repE0EEENS1_30default_config_static_selectorELNS0_4arch9wavefront6targetE0EEEvT1_
; %bb.0:
	.section	.rodata,"a",@progbits
	.p2align	6, 0x0
	.amdhsa_kernel _ZN7rocprim17ROCPRIM_400000_NS6detail17trampoline_kernelINS0_14default_configENS1_20scan_config_selectorIiEEZZNS1_9scan_implILNS1_25lookback_scan_determinismE0ELb0ELb0ES3_N6thrust23THRUST_200600_302600_NS6detail15normal_iteratorINS9_10device_ptrIiEEEESE_iNS9_4plusIvEEiEEDaPvRmT3_T4_T5_mT6_P12ihipStream_tbENKUlT_T0_E_clISt17integral_constantIbLb1EEST_IbLb0EEEEDaSP_SQ_EUlSP_E_NS1_11comp_targetILNS1_3genE2ELNS1_11target_archE906ELNS1_3gpuE6ELNS1_3repE0EEENS1_30default_config_static_selectorELNS0_4arch9wavefront6targetE0EEEvT1_
		.amdhsa_group_segment_fixed_size 0
		.amdhsa_private_segment_fixed_size 0
		.amdhsa_kernarg_size 96
		.amdhsa_user_sgpr_count 15
		.amdhsa_user_sgpr_dispatch_ptr 0
		.amdhsa_user_sgpr_queue_ptr 0
		.amdhsa_user_sgpr_kernarg_segment_ptr 1
		.amdhsa_user_sgpr_dispatch_id 0
		.amdhsa_user_sgpr_private_segment_size 0
		.amdhsa_wavefront_size32 1
		.amdhsa_uses_dynamic_stack 0
		.amdhsa_enable_private_segment 0
		.amdhsa_system_sgpr_workgroup_id_x 1
		.amdhsa_system_sgpr_workgroup_id_y 0
		.amdhsa_system_sgpr_workgroup_id_z 0
		.amdhsa_system_sgpr_workgroup_info 0
		.amdhsa_system_vgpr_workitem_id 0
		.amdhsa_next_free_vgpr 1
		.amdhsa_next_free_sgpr 1
		.amdhsa_reserve_vcc 0
		.amdhsa_float_round_mode_32 0
		.amdhsa_float_round_mode_16_64 0
		.amdhsa_float_denorm_mode_32 3
		.amdhsa_float_denorm_mode_16_64 3
		.amdhsa_dx10_clamp 1
		.amdhsa_ieee_mode 1
		.amdhsa_fp16_overflow 0
		.amdhsa_workgroup_processor_mode 1
		.amdhsa_memory_ordered 1
		.amdhsa_forward_progress 0
		.amdhsa_shared_vgpr_count 0
		.amdhsa_exception_fp_ieee_invalid_op 0
		.amdhsa_exception_fp_denorm_src 0
		.amdhsa_exception_fp_ieee_div_zero 0
		.amdhsa_exception_fp_ieee_overflow 0
		.amdhsa_exception_fp_ieee_underflow 0
		.amdhsa_exception_fp_ieee_inexact 0
		.amdhsa_exception_int_div_zero 0
	.end_amdhsa_kernel
	.section	.text._ZN7rocprim17ROCPRIM_400000_NS6detail17trampoline_kernelINS0_14default_configENS1_20scan_config_selectorIiEEZZNS1_9scan_implILNS1_25lookback_scan_determinismE0ELb0ELb0ES3_N6thrust23THRUST_200600_302600_NS6detail15normal_iteratorINS9_10device_ptrIiEEEESE_iNS9_4plusIvEEiEEDaPvRmT3_T4_T5_mT6_P12ihipStream_tbENKUlT_T0_E_clISt17integral_constantIbLb1EEST_IbLb0EEEEDaSP_SQ_EUlSP_E_NS1_11comp_targetILNS1_3genE2ELNS1_11target_archE906ELNS1_3gpuE6ELNS1_3repE0EEENS1_30default_config_static_selectorELNS0_4arch9wavefront6targetE0EEEvT1_,"axG",@progbits,_ZN7rocprim17ROCPRIM_400000_NS6detail17trampoline_kernelINS0_14default_configENS1_20scan_config_selectorIiEEZZNS1_9scan_implILNS1_25lookback_scan_determinismE0ELb0ELb0ES3_N6thrust23THRUST_200600_302600_NS6detail15normal_iteratorINS9_10device_ptrIiEEEESE_iNS9_4plusIvEEiEEDaPvRmT3_T4_T5_mT6_P12ihipStream_tbENKUlT_T0_E_clISt17integral_constantIbLb1EEST_IbLb0EEEEDaSP_SQ_EUlSP_E_NS1_11comp_targetILNS1_3genE2ELNS1_11target_archE906ELNS1_3gpuE6ELNS1_3repE0EEENS1_30default_config_static_selectorELNS0_4arch9wavefront6targetE0EEEvT1_,comdat
.Lfunc_end53:
	.size	_ZN7rocprim17ROCPRIM_400000_NS6detail17trampoline_kernelINS0_14default_configENS1_20scan_config_selectorIiEEZZNS1_9scan_implILNS1_25lookback_scan_determinismE0ELb0ELb0ES3_N6thrust23THRUST_200600_302600_NS6detail15normal_iteratorINS9_10device_ptrIiEEEESE_iNS9_4plusIvEEiEEDaPvRmT3_T4_T5_mT6_P12ihipStream_tbENKUlT_T0_E_clISt17integral_constantIbLb1EEST_IbLb0EEEEDaSP_SQ_EUlSP_E_NS1_11comp_targetILNS1_3genE2ELNS1_11target_archE906ELNS1_3gpuE6ELNS1_3repE0EEENS1_30default_config_static_selectorELNS0_4arch9wavefront6targetE0EEEvT1_, .Lfunc_end53-_ZN7rocprim17ROCPRIM_400000_NS6detail17trampoline_kernelINS0_14default_configENS1_20scan_config_selectorIiEEZZNS1_9scan_implILNS1_25lookback_scan_determinismE0ELb0ELb0ES3_N6thrust23THRUST_200600_302600_NS6detail15normal_iteratorINS9_10device_ptrIiEEEESE_iNS9_4plusIvEEiEEDaPvRmT3_T4_T5_mT6_P12ihipStream_tbENKUlT_T0_E_clISt17integral_constantIbLb1EEST_IbLb0EEEEDaSP_SQ_EUlSP_E_NS1_11comp_targetILNS1_3genE2ELNS1_11target_archE906ELNS1_3gpuE6ELNS1_3repE0EEENS1_30default_config_static_selectorELNS0_4arch9wavefront6targetE0EEEvT1_
                                        ; -- End function
	.section	.AMDGPU.csdata,"",@progbits
; Kernel info:
; codeLenInByte = 0
; NumSgprs: 0
; NumVgprs: 0
; ScratchSize: 0
; MemoryBound: 0
; FloatMode: 240
; IeeeMode: 1
; LDSByteSize: 0 bytes/workgroup (compile time only)
; SGPRBlocks: 0
; VGPRBlocks: 0
; NumSGPRsForWavesPerEU: 1
; NumVGPRsForWavesPerEU: 1
; Occupancy: 16
; WaveLimiterHint : 0
; COMPUTE_PGM_RSRC2:SCRATCH_EN: 0
; COMPUTE_PGM_RSRC2:USER_SGPR: 15
; COMPUTE_PGM_RSRC2:TRAP_HANDLER: 0
; COMPUTE_PGM_RSRC2:TGID_X_EN: 1
; COMPUTE_PGM_RSRC2:TGID_Y_EN: 0
; COMPUTE_PGM_RSRC2:TGID_Z_EN: 0
; COMPUTE_PGM_RSRC2:TIDIG_COMP_CNT: 0
	.section	.text._ZN7rocprim17ROCPRIM_400000_NS6detail17trampoline_kernelINS0_14default_configENS1_20scan_config_selectorIiEEZZNS1_9scan_implILNS1_25lookback_scan_determinismE0ELb0ELb0ES3_N6thrust23THRUST_200600_302600_NS6detail15normal_iteratorINS9_10device_ptrIiEEEESE_iNS9_4plusIvEEiEEDaPvRmT3_T4_T5_mT6_P12ihipStream_tbENKUlT_T0_E_clISt17integral_constantIbLb1EEST_IbLb0EEEEDaSP_SQ_EUlSP_E_NS1_11comp_targetILNS1_3genE10ELNS1_11target_archE1201ELNS1_3gpuE5ELNS1_3repE0EEENS1_30default_config_static_selectorELNS0_4arch9wavefront6targetE0EEEvT1_,"axG",@progbits,_ZN7rocprim17ROCPRIM_400000_NS6detail17trampoline_kernelINS0_14default_configENS1_20scan_config_selectorIiEEZZNS1_9scan_implILNS1_25lookback_scan_determinismE0ELb0ELb0ES3_N6thrust23THRUST_200600_302600_NS6detail15normal_iteratorINS9_10device_ptrIiEEEESE_iNS9_4plusIvEEiEEDaPvRmT3_T4_T5_mT6_P12ihipStream_tbENKUlT_T0_E_clISt17integral_constantIbLb1EEST_IbLb0EEEEDaSP_SQ_EUlSP_E_NS1_11comp_targetILNS1_3genE10ELNS1_11target_archE1201ELNS1_3gpuE5ELNS1_3repE0EEENS1_30default_config_static_selectorELNS0_4arch9wavefront6targetE0EEEvT1_,comdat
	.protected	_ZN7rocprim17ROCPRIM_400000_NS6detail17trampoline_kernelINS0_14default_configENS1_20scan_config_selectorIiEEZZNS1_9scan_implILNS1_25lookback_scan_determinismE0ELb0ELb0ES3_N6thrust23THRUST_200600_302600_NS6detail15normal_iteratorINS9_10device_ptrIiEEEESE_iNS9_4plusIvEEiEEDaPvRmT3_T4_T5_mT6_P12ihipStream_tbENKUlT_T0_E_clISt17integral_constantIbLb1EEST_IbLb0EEEEDaSP_SQ_EUlSP_E_NS1_11comp_targetILNS1_3genE10ELNS1_11target_archE1201ELNS1_3gpuE5ELNS1_3repE0EEENS1_30default_config_static_selectorELNS0_4arch9wavefront6targetE0EEEvT1_ ; -- Begin function _ZN7rocprim17ROCPRIM_400000_NS6detail17trampoline_kernelINS0_14default_configENS1_20scan_config_selectorIiEEZZNS1_9scan_implILNS1_25lookback_scan_determinismE0ELb0ELb0ES3_N6thrust23THRUST_200600_302600_NS6detail15normal_iteratorINS9_10device_ptrIiEEEESE_iNS9_4plusIvEEiEEDaPvRmT3_T4_T5_mT6_P12ihipStream_tbENKUlT_T0_E_clISt17integral_constantIbLb1EEST_IbLb0EEEEDaSP_SQ_EUlSP_E_NS1_11comp_targetILNS1_3genE10ELNS1_11target_archE1201ELNS1_3gpuE5ELNS1_3repE0EEENS1_30default_config_static_selectorELNS0_4arch9wavefront6targetE0EEEvT1_
	.globl	_ZN7rocprim17ROCPRIM_400000_NS6detail17trampoline_kernelINS0_14default_configENS1_20scan_config_selectorIiEEZZNS1_9scan_implILNS1_25lookback_scan_determinismE0ELb0ELb0ES3_N6thrust23THRUST_200600_302600_NS6detail15normal_iteratorINS9_10device_ptrIiEEEESE_iNS9_4plusIvEEiEEDaPvRmT3_T4_T5_mT6_P12ihipStream_tbENKUlT_T0_E_clISt17integral_constantIbLb1EEST_IbLb0EEEEDaSP_SQ_EUlSP_E_NS1_11comp_targetILNS1_3genE10ELNS1_11target_archE1201ELNS1_3gpuE5ELNS1_3repE0EEENS1_30default_config_static_selectorELNS0_4arch9wavefront6targetE0EEEvT1_
	.p2align	8
	.type	_ZN7rocprim17ROCPRIM_400000_NS6detail17trampoline_kernelINS0_14default_configENS1_20scan_config_selectorIiEEZZNS1_9scan_implILNS1_25lookback_scan_determinismE0ELb0ELb0ES3_N6thrust23THRUST_200600_302600_NS6detail15normal_iteratorINS9_10device_ptrIiEEEESE_iNS9_4plusIvEEiEEDaPvRmT3_T4_T5_mT6_P12ihipStream_tbENKUlT_T0_E_clISt17integral_constantIbLb1EEST_IbLb0EEEEDaSP_SQ_EUlSP_E_NS1_11comp_targetILNS1_3genE10ELNS1_11target_archE1201ELNS1_3gpuE5ELNS1_3repE0EEENS1_30default_config_static_selectorELNS0_4arch9wavefront6targetE0EEEvT1_,@function
_ZN7rocprim17ROCPRIM_400000_NS6detail17trampoline_kernelINS0_14default_configENS1_20scan_config_selectorIiEEZZNS1_9scan_implILNS1_25lookback_scan_determinismE0ELb0ELb0ES3_N6thrust23THRUST_200600_302600_NS6detail15normal_iteratorINS9_10device_ptrIiEEEESE_iNS9_4plusIvEEiEEDaPvRmT3_T4_T5_mT6_P12ihipStream_tbENKUlT_T0_E_clISt17integral_constantIbLb1EEST_IbLb0EEEEDaSP_SQ_EUlSP_E_NS1_11comp_targetILNS1_3genE10ELNS1_11target_archE1201ELNS1_3gpuE5ELNS1_3repE0EEENS1_30default_config_static_selectorELNS0_4arch9wavefront6targetE0EEEvT1_: ; @_ZN7rocprim17ROCPRIM_400000_NS6detail17trampoline_kernelINS0_14default_configENS1_20scan_config_selectorIiEEZZNS1_9scan_implILNS1_25lookback_scan_determinismE0ELb0ELb0ES3_N6thrust23THRUST_200600_302600_NS6detail15normal_iteratorINS9_10device_ptrIiEEEESE_iNS9_4plusIvEEiEEDaPvRmT3_T4_T5_mT6_P12ihipStream_tbENKUlT_T0_E_clISt17integral_constantIbLb1EEST_IbLb0EEEEDaSP_SQ_EUlSP_E_NS1_11comp_targetILNS1_3genE10ELNS1_11target_archE1201ELNS1_3gpuE5ELNS1_3repE0EEENS1_30default_config_static_selectorELNS0_4arch9wavefront6targetE0EEEvT1_
; %bb.0:
	.section	.rodata,"a",@progbits
	.p2align	6, 0x0
	.amdhsa_kernel _ZN7rocprim17ROCPRIM_400000_NS6detail17trampoline_kernelINS0_14default_configENS1_20scan_config_selectorIiEEZZNS1_9scan_implILNS1_25lookback_scan_determinismE0ELb0ELb0ES3_N6thrust23THRUST_200600_302600_NS6detail15normal_iteratorINS9_10device_ptrIiEEEESE_iNS9_4plusIvEEiEEDaPvRmT3_T4_T5_mT6_P12ihipStream_tbENKUlT_T0_E_clISt17integral_constantIbLb1EEST_IbLb0EEEEDaSP_SQ_EUlSP_E_NS1_11comp_targetILNS1_3genE10ELNS1_11target_archE1201ELNS1_3gpuE5ELNS1_3repE0EEENS1_30default_config_static_selectorELNS0_4arch9wavefront6targetE0EEEvT1_
		.amdhsa_group_segment_fixed_size 0
		.amdhsa_private_segment_fixed_size 0
		.amdhsa_kernarg_size 96
		.amdhsa_user_sgpr_count 15
		.amdhsa_user_sgpr_dispatch_ptr 0
		.amdhsa_user_sgpr_queue_ptr 0
		.amdhsa_user_sgpr_kernarg_segment_ptr 1
		.amdhsa_user_sgpr_dispatch_id 0
		.amdhsa_user_sgpr_private_segment_size 0
		.amdhsa_wavefront_size32 1
		.amdhsa_uses_dynamic_stack 0
		.amdhsa_enable_private_segment 0
		.amdhsa_system_sgpr_workgroup_id_x 1
		.amdhsa_system_sgpr_workgroup_id_y 0
		.amdhsa_system_sgpr_workgroup_id_z 0
		.amdhsa_system_sgpr_workgroup_info 0
		.amdhsa_system_vgpr_workitem_id 0
		.amdhsa_next_free_vgpr 1
		.amdhsa_next_free_sgpr 1
		.amdhsa_reserve_vcc 0
		.amdhsa_float_round_mode_32 0
		.amdhsa_float_round_mode_16_64 0
		.amdhsa_float_denorm_mode_32 3
		.amdhsa_float_denorm_mode_16_64 3
		.amdhsa_dx10_clamp 1
		.amdhsa_ieee_mode 1
		.amdhsa_fp16_overflow 0
		.amdhsa_workgroup_processor_mode 1
		.amdhsa_memory_ordered 1
		.amdhsa_forward_progress 0
		.amdhsa_shared_vgpr_count 0
		.amdhsa_exception_fp_ieee_invalid_op 0
		.amdhsa_exception_fp_denorm_src 0
		.amdhsa_exception_fp_ieee_div_zero 0
		.amdhsa_exception_fp_ieee_overflow 0
		.amdhsa_exception_fp_ieee_underflow 0
		.amdhsa_exception_fp_ieee_inexact 0
		.amdhsa_exception_int_div_zero 0
	.end_amdhsa_kernel
	.section	.text._ZN7rocprim17ROCPRIM_400000_NS6detail17trampoline_kernelINS0_14default_configENS1_20scan_config_selectorIiEEZZNS1_9scan_implILNS1_25lookback_scan_determinismE0ELb0ELb0ES3_N6thrust23THRUST_200600_302600_NS6detail15normal_iteratorINS9_10device_ptrIiEEEESE_iNS9_4plusIvEEiEEDaPvRmT3_T4_T5_mT6_P12ihipStream_tbENKUlT_T0_E_clISt17integral_constantIbLb1EEST_IbLb0EEEEDaSP_SQ_EUlSP_E_NS1_11comp_targetILNS1_3genE10ELNS1_11target_archE1201ELNS1_3gpuE5ELNS1_3repE0EEENS1_30default_config_static_selectorELNS0_4arch9wavefront6targetE0EEEvT1_,"axG",@progbits,_ZN7rocprim17ROCPRIM_400000_NS6detail17trampoline_kernelINS0_14default_configENS1_20scan_config_selectorIiEEZZNS1_9scan_implILNS1_25lookback_scan_determinismE0ELb0ELb0ES3_N6thrust23THRUST_200600_302600_NS6detail15normal_iteratorINS9_10device_ptrIiEEEESE_iNS9_4plusIvEEiEEDaPvRmT3_T4_T5_mT6_P12ihipStream_tbENKUlT_T0_E_clISt17integral_constantIbLb1EEST_IbLb0EEEEDaSP_SQ_EUlSP_E_NS1_11comp_targetILNS1_3genE10ELNS1_11target_archE1201ELNS1_3gpuE5ELNS1_3repE0EEENS1_30default_config_static_selectorELNS0_4arch9wavefront6targetE0EEEvT1_,comdat
.Lfunc_end54:
	.size	_ZN7rocprim17ROCPRIM_400000_NS6detail17trampoline_kernelINS0_14default_configENS1_20scan_config_selectorIiEEZZNS1_9scan_implILNS1_25lookback_scan_determinismE0ELb0ELb0ES3_N6thrust23THRUST_200600_302600_NS6detail15normal_iteratorINS9_10device_ptrIiEEEESE_iNS9_4plusIvEEiEEDaPvRmT3_T4_T5_mT6_P12ihipStream_tbENKUlT_T0_E_clISt17integral_constantIbLb1EEST_IbLb0EEEEDaSP_SQ_EUlSP_E_NS1_11comp_targetILNS1_3genE10ELNS1_11target_archE1201ELNS1_3gpuE5ELNS1_3repE0EEENS1_30default_config_static_selectorELNS0_4arch9wavefront6targetE0EEEvT1_, .Lfunc_end54-_ZN7rocprim17ROCPRIM_400000_NS6detail17trampoline_kernelINS0_14default_configENS1_20scan_config_selectorIiEEZZNS1_9scan_implILNS1_25lookback_scan_determinismE0ELb0ELb0ES3_N6thrust23THRUST_200600_302600_NS6detail15normal_iteratorINS9_10device_ptrIiEEEESE_iNS9_4plusIvEEiEEDaPvRmT3_T4_T5_mT6_P12ihipStream_tbENKUlT_T0_E_clISt17integral_constantIbLb1EEST_IbLb0EEEEDaSP_SQ_EUlSP_E_NS1_11comp_targetILNS1_3genE10ELNS1_11target_archE1201ELNS1_3gpuE5ELNS1_3repE0EEENS1_30default_config_static_selectorELNS0_4arch9wavefront6targetE0EEEvT1_
                                        ; -- End function
	.section	.AMDGPU.csdata,"",@progbits
; Kernel info:
; codeLenInByte = 0
; NumSgprs: 0
; NumVgprs: 0
; ScratchSize: 0
; MemoryBound: 0
; FloatMode: 240
; IeeeMode: 1
; LDSByteSize: 0 bytes/workgroup (compile time only)
; SGPRBlocks: 0
; VGPRBlocks: 0
; NumSGPRsForWavesPerEU: 1
; NumVGPRsForWavesPerEU: 1
; Occupancy: 16
; WaveLimiterHint : 0
; COMPUTE_PGM_RSRC2:SCRATCH_EN: 0
; COMPUTE_PGM_RSRC2:USER_SGPR: 15
; COMPUTE_PGM_RSRC2:TRAP_HANDLER: 0
; COMPUTE_PGM_RSRC2:TGID_X_EN: 1
; COMPUTE_PGM_RSRC2:TGID_Y_EN: 0
; COMPUTE_PGM_RSRC2:TGID_Z_EN: 0
; COMPUTE_PGM_RSRC2:TIDIG_COMP_CNT: 0
	.section	.text._ZN7rocprim17ROCPRIM_400000_NS6detail17trampoline_kernelINS0_14default_configENS1_20scan_config_selectorIiEEZZNS1_9scan_implILNS1_25lookback_scan_determinismE0ELb0ELb0ES3_N6thrust23THRUST_200600_302600_NS6detail15normal_iteratorINS9_10device_ptrIiEEEESE_iNS9_4plusIvEEiEEDaPvRmT3_T4_T5_mT6_P12ihipStream_tbENKUlT_T0_E_clISt17integral_constantIbLb1EEST_IbLb0EEEEDaSP_SQ_EUlSP_E_NS1_11comp_targetILNS1_3genE10ELNS1_11target_archE1200ELNS1_3gpuE4ELNS1_3repE0EEENS1_30default_config_static_selectorELNS0_4arch9wavefront6targetE0EEEvT1_,"axG",@progbits,_ZN7rocprim17ROCPRIM_400000_NS6detail17trampoline_kernelINS0_14default_configENS1_20scan_config_selectorIiEEZZNS1_9scan_implILNS1_25lookback_scan_determinismE0ELb0ELb0ES3_N6thrust23THRUST_200600_302600_NS6detail15normal_iteratorINS9_10device_ptrIiEEEESE_iNS9_4plusIvEEiEEDaPvRmT3_T4_T5_mT6_P12ihipStream_tbENKUlT_T0_E_clISt17integral_constantIbLb1EEST_IbLb0EEEEDaSP_SQ_EUlSP_E_NS1_11comp_targetILNS1_3genE10ELNS1_11target_archE1200ELNS1_3gpuE4ELNS1_3repE0EEENS1_30default_config_static_selectorELNS0_4arch9wavefront6targetE0EEEvT1_,comdat
	.protected	_ZN7rocprim17ROCPRIM_400000_NS6detail17trampoline_kernelINS0_14default_configENS1_20scan_config_selectorIiEEZZNS1_9scan_implILNS1_25lookback_scan_determinismE0ELb0ELb0ES3_N6thrust23THRUST_200600_302600_NS6detail15normal_iteratorINS9_10device_ptrIiEEEESE_iNS9_4plusIvEEiEEDaPvRmT3_T4_T5_mT6_P12ihipStream_tbENKUlT_T0_E_clISt17integral_constantIbLb1EEST_IbLb0EEEEDaSP_SQ_EUlSP_E_NS1_11comp_targetILNS1_3genE10ELNS1_11target_archE1200ELNS1_3gpuE4ELNS1_3repE0EEENS1_30default_config_static_selectorELNS0_4arch9wavefront6targetE0EEEvT1_ ; -- Begin function _ZN7rocprim17ROCPRIM_400000_NS6detail17trampoline_kernelINS0_14default_configENS1_20scan_config_selectorIiEEZZNS1_9scan_implILNS1_25lookback_scan_determinismE0ELb0ELb0ES3_N6thrust23THRUST_200600_302600_NS6detail15normal_iteratorINS9_10device_ptrIiEEEESE_iNS9_4plusIvEEiEEDaPvRmT3_T4_T5_mT6_P12ihipStream_tbENKUlT_T0_E_clISt17integral_constantIbLb1EEST_IbLb0EEEEDaSP_SQ_EUlSP_E_NS1_11comp_targetILNS1_3genE10ELNS1_11target_archE1200ELNS1_3gpuE4ELNS1_3repE0EEENS1_30default_config_static_selectorELNS0_4arch9wavefront6targetE0EEEvT1_
	.globl	_ZN7rocprim17ROCPRIM_400000_NS6detail17trampoline_kernelINS0_14default_configENS1_20scan_config_selectorIiEEZZNS1_9scan_implILNS1_25lookback_scan_determinismE0ELb0ELb0ES3_N6thrust23THRUST_200600_302600_NS6detail15normal_iteratorINS9_10device_ptrIiEEEESE_iNS9_4plusIvEEiEEDaPvRmT3_T4_T5_mT6_P12ihipStream_tbENKUlT_T0_E_clISt17integral_constantIbLb1EEST_IbLb0EEEEDaSP_SQ_EUlSP_E_NS1_11comp_targetILNS1_3genE10ELNS1_11target_archE1200ELNS1_3gpuE4ELNS1_3repE0EEENS1_30default_config_static_selectorELNS0_4arch9wavefront6targetE0EEEvT1_
	.p2align	8
	.type	_ZN7rocprim17ROCPRIM_400000_NS6detail17trampoline_kernelINS0_14default_configENS1_20scan_config_selectorIiEEZZNS1_9scan_implILNS1_25lookback_scan_determinismE0ELb0ELb0ES3_N6thrust23THRUST_200600_302600_NS6detail15normal_iteratorINS9_10device_ptrIiEEEESE_iNS9_4plusIvEEiEEDaPvRmT3_T4_T5_mT6_P12ihipStream_tbENKUlT_T0_E_clISt17integral_constantIbLb1EEST_IbLb0EEEEDaSP_SQ_EUlSP_E_NS1_11comp_targetILNS1_3genE10ELNS1_11target_archE1200ELNS1_3gpuE4ELNS1_3repE0EEENS1_30default_config_static_selectorELNS0_4arch9wavefront6targetE0EEEvT1_,@function
_ZN7rocprim17ROCPRIM_400000_NS6detail17trampoline_kernelINS0_14default_configENS1_20scan_config_selectorIiEEZZNS1_9scan_implILNS1_25lookback_scan_determinismE0ELb0ELb0ES3_N6thrust23THRUST_200600_302600_NS6detail15normal_iteratorINS9_10device_ptrIiEEEESE_iNS9_4plusIvEEiEEDaPvRmT3_T4_T5_mT6_P12ihipStream_tbENKUlT_T0_E_clISt17integral_constantIbLb1EEST_IbLb0EEEEDaSP_SQ_EUlSP_E_NS1_11comp_targetILNS1_3genE10ELNS1_11target_archE1200ELNS1_3gpuE4ELNS1_3repE0EEENS1_30default_config_static_selectorELNS0_4arch9wavefront6targetE0EEEvT1_: ; @_ZN7rocprim17ROCPRIM_400000_NS6detail17trampoline_kernelINS0_14default_configENS1_20scan_config_selectorIiEEZZNS1_9scan_implILNS1_25lookback_scan_determinismE0ELb0ELb0ES3_N6thrust23THRUST_200600_302600_NS6detail15normal_iteratorINS9_10device_ptrIiEEEESE_iNS9_4plusIvEEiEEDaPvRmT3_T4_T5_mT6_P12ihipStream_tbENKUlT_T0_E_clISt17integral_constantIbLb1EEST_IbLb0EEEEDaSP_SQ_EUlSP_E_NS1_11comp_targetILNS1_3genE10ELNS1_11target_archE1200ELNS1_3gpuE4ELNS1_3repE0EEENS1_30default_config_static_selectorELNS0_4arch9wavefront6targetE0EEEvT1_
; %bb.0:
	.section	.rodata,"a",@progbits
	.p2align	6, 0x0
	.amdhsa_kernel _ZN7rocprim17ROCPRIM_400000_NS6detail17trampoline_kernelINS0_14default_configENS1_20scan_config_selectorIiEEZZNS1_9scan_implILNS1_25lookback_scan_determinismE0ELb0ELb0ES3_N6thrust23THRUST_200600_302600_NS6detail15normal_iteratorINS9_10device_ptrIiEEEESE_iNS9_4plusIvEEiEEDaPvRmT3_T4_T5_mT6_P12ihipStream_tbENKUlT_T0_E_clISt17integral_constantIbLb1EEST_IbLb0EEEEDaSP_SQ_EUlSP_E_NS1_11comp_targetILNS1_3genE10ELNS1_11target_archE1200ELNS1_3gpuE4ELNS1_3repE0EEENS1_30default_config_static_selectorELNS0_4arch9wavefront6targetE0EEEvT1_
		.amdhsa_group_segment_fixed_size 0
		.amdhsa_private_segment_fixed_size 0
		.amdhsa_kernarg_size 96
		.amdhsa_user_sgpr_count 15
		.amdhsa_user_sgpr_dispatch_ptr 0
		.amdhsa_user_sgpr_queue_ptr 0
		.amdhsa_user_sgpr_kernarg_segment_ptr 1
		.amdhsa_user_sgpr_dispatch_id 0
		.amdhsa_user_sgpr_private_segment_size 0
		.amdhsa_wavefront_size32 1
		.amdhsa_uses_dynamic_stack 0
		.amdhsa_enable_private_segment 0
		.amdhsa_system_sgpr_workgroup_id_x 1
		.amdhsa_system_sgpr_workgroup_id_y 0
		.amdhsa_system_sgpr_workgroup_id_z 0
		.amdhsa_system_sgpr_workgroup_info 0
		.amdhsa_system_vgpr_workitem_id 0
		.amdhsa_next_free_vgpr 1
		.amdhsa_next_free_sgpr 1
		.amdhsa_reserve_vcc 0
		.amdhsa_float_round_mode_32 0
		.amdhsa_float_round_mode_16_64 0
		.amdhsa_float_denorm_mode_32 3
		.amdhsa_float_denorm_mode_16_64 3
		.amdhsa_dx10_clamp 1
		.amdhsa_ieee_mode 1
		.amdhsa_fp16_overflow 0
		.amdhsa_workgroup_processor_mode 1
		.amdhsa_memory_ordered 1
		.amdhsa_forward_progress 0
		.amdhsa_shared_vgpr_count 0
		.amdhsa_exception_fp_ieee_invalid_op 0
		.amdhsa_exception_fp_denorm_src 0
		.amdhsa_exception_fp_ieee_div_zero 0
		.amdhsa_exception_fp_ieee_overflow 0
		.amdhsa_exception_fp_ieee_underflow 0
		.amdhsa_exception_fp_ieee_inexact 0
		.amdhsa_exception_int_div_zero 0
	.end_amdhsa_kernel
	.section	.text._ZN7rocprim17ROCPRIM_400000_NS6detail17trampoline_kernelINS0_14default_configENS1_20scan_config_selectorIiEEZZNS1_9scan_implILNS1_25lookback_scan_determinismE0ELb0ELb0ES3_N6thrust23THRUST_200600_302600_NS6detail15normal_iteratorINS9_10device_ptrIiEEEESE_iNS9_4plusIvEEiEEDaPvRmT3_T4_T5_mT6_P12ihipStream_tbENKUlT_T0_E_clISt17integral_constantIbLb1EEST_IbLb0EEEEDaSP_SQ_EUlSP_E_NS1_11comp_targetILNS1_3genE10ELNS1_11target_archE1200ELNS1_3gpuE4ELNS1_3repE0EEENS1_30default_config_static_selectorELNS0_4arch9wavefront6targetE0EEEvT1_,"axG",@progbits,_ZN7rocprim17ROCPRIM_400000_NS6detail17trampoline_kernelINS0_14default_configENS1_20scan_config_selectorIiEEZZNS1_9scan_implILNS1_25lookback_scan_determinismE0ELb0ELb0ES3_N6thrust23THRUST_200600_302600_NS6detail15normal_iteratorINS9_10device_ptrIiEEEESE_iNS9_4plusIvEEiEEDaPvRmT3_T4_T5_mT6_P12ihipStream_tbENKUlT_T0_E_clISt17integral_constantIbLb1EEST_IbLb0EEEEDaSP_SQ_EUlSP_E_NS1_11comp_targetILNS1_3genE10ELNS1_11target_archE1200ELNS1_3gpuE4ELNS1_3repE0EEENS1_30default_config_static_selectorELNS0_4arch9wavefront6targetE0EEEvT1_,comdat
.Lfunc_end55:
	.size	_ZN7rocprim17ROCPRIM_400000_NS6detail17trampoline_kernelINS0_14default_configENS1_20scan_config_selectorIiEEZZNS1_9scan_implILNS1_25lookback_scan_determinismE0ELb0ELb0ES3_N6thrust23THRUST_200600_302600_NS6detail15normal_iteratorINS9_10device_ptrIiEEEESE_iNS9_4plusIvEEiEEDaPvRmT3_T4_T5_mT6_P12ihipStream_tbENKUlT_T0_E_clISt17integral_constantIbLb1EEST_IbLb0EEEEDaSP_SQ_EUlSP_E_NS1_11comp_targetILNS1_3genE10ELNS1_11target_archE1200ELNS1_3gpuE4ELNS1_3repE0EEENS1_30default_config_static_selectorELNS0_4arch9wavefront6targetE0EEEvT1_, .Lfunc_end55-_ZN7rocprim17ROCPRIM_400000_NS6detail17trampoline_kernelINS0_14default_configENS1_20scan_config_selectorIiEEZZNS1_9scan_implILNS1_25lookback_scan_determinismE0ELb0ELb0ES3_N6thrust23THRUST_200600_302600_NS6detail15normal_iteratorINS9_10device_ptrIiEEEESE_iNS9_4plusIvEEiEEDaPvRmT3_T4_T5_mT6_P12ihipStream_tbENKUlT_T0_E_clISt17integral_constantIbLb1EEST_IbLb0EEEEDaSP_SQ_EUlSP_E_NS1_11comp_targetILNS1_3genE10ELNS1_11target_archE1200ELNS1_3gpuE4ELNS1_3repE0EEENS1_30default_config_static_selectorELNS0_4arch9wavefront6targetE0EEEvT1_
                                        ; -- End function
	.section	.AMDGPU.csdata,"",@progbits
; Kernel info:
; codeLenInByte = 0
; NumSgprs: 0
; NumVgprs: 0
; ScratchSize: 0
; MemoryBound: 0
; FloatMode: 240
; IeeeMode: 1
; LDSByteSize: 0 bytes/workgroup (compile time only)
; SGPRBlocks: 0
; VGPRBlocks: 0
; NumSGPRsForWavesPerEU: 1
; NumVGPRsForWavesPerEU: 1
; Occupancy: 16
; WaveLimiterHint : 0
; COMPUTE_PGM_RSRC2:SCRATCH_EN: 0
; COMPUTE_PGM_RSRC2:USER_SGPR: 15
; COMPUTE_PGM_RSRC2:TRAP_HANDLER: 0
; COMPUTE_PGM_RSRC2:TGID_X_EN: 1
; COMPUTE_PGM_RSRC2:TGID_Y_EN: 0
; COMPUTE_PGM_RSRC2:TGID_Z_EN: 0
; COMPUTE_PGM_RSRC2:TIDIG_COMP_CNT: 0
	.section	.text._ZN7rocprim17ROCPRIM_400000_NS6detail17trampoline_kernelINS0_14default_configENS1_20scan_config_selectorIiEEZZNS1_9scan_implILNS1_25lookback_scan_determinismE0ELb0ELb0ES3_N6thrust23THRUST_200600_302600_NS6detail15normal_iteratorINS9_10device_ptrIiEEEESE_iNS9_4plusIvEEiEEDaPvRmT3_T4_T5_mT6_P12ihipStream_tbENKUlT_T0_E_clISt17integral_constantIbLb1EEST_IbLb0EEEEDaSP_SQ_EUlSP_E_NS1_11comp_targetILNS1_3genE9ELNS1_11target_archE1100ELNS1_3gpuE3ELNS1_3repE0EEENS1_30default_config_static_selectorELNS0_4arch9wavefront6targetE0EEEvT1_,"axG",@progbits,_ZN7rocprim17ROCPRIM_400000_NS6detail17trampoline_kernelINS0_14default_configENS1_20scan_config_selectorIiEEZZNS1_9scan_implILNS1_25lookback_scan_determinismE0ELb0ELb0ES3_N6thrust23THRUST_200600_302600_NS6detail15normal_iteratorINS9_10device_ptrIiEEEESE_iNS9_4plusIvEEiEEDaPvRmT3_T4_T5_mT6_P12ihipStream_tbENKUlT_T0_E_clISt17integral_constantIbLb1EEST_IbLb0EEEEDaSP_SQ_EUlSP_E_NS1_11comp_targetILNS1_3genE9ELNS1_11target_archE1100ELNS1_3gpuE3ELNS1_3repE0EEENS1_30default_config_static_selectorELNS0_4arch9wavefront6targetE0EEEvT1_,comdat
	.protected	_ZN7rocprim17ROCPRIM_400000_NS6detail17trampoline_kernelINS0_14default_configENS1_20scan_config_selectorIiEEZZNS1_9scan_implILNS1_25lookback_scan_determinismE0ELb0ELb0ES3_N6thrust23THRUST_200600_302600_NS6detail15normal_iteratorINS9_10device_ptrIiEEEESE_iNS9_4plusIvEEiEEDaPvRmT3_T4_T5_mT6_P12ihipStream_tbENKUlT_T0_E_clISt17integral_constantIbLb1EEST_IbLb0EEEEDaSP_SQ_EUlSP_E_NS1_11comp_targetILNS1_3genE9ELNS1_11target_archE1100ELNS1_3gpuE3ELNS1_3repE0EEENS1_30default_config_static_selectorELNS0_4arch9wavefront6targetE0EEEvT1_ ; -- Begin function _ZN7rocprim17ROCPRIM_400000_NS6detail17trampoline_kernelINS0_14default_configENS1_20scan_config_selectorIiEEZZNS1_9scan_implILNS1_25lookback_scan_determinismE0ELb0ELb0ES3_N6thrust23THRUST_200600_302600_NS6detail15normal_iteratorINS9_10device_ptrIiEEEESE_iNS9_4plusIvEEiEEDaPvRmT3_T4_T5_mT6_P12ihipStream_tbENKUlT_T0_E_clISt17integral_constantIbLb1EEST_IbLb0EEEEDaSP_SQ_EUlSP_E_NS1_11comp_targetILNS1_3genE9ELNS1_11target_archE1100ELNS1_3gpuE3ELNS1_3repE0EEENS1_30default_config_static_selectorELNS0_4arch9wavefront6targetE0EEEvT1_
	.globl	_ZN7rocprim17ROCPRIM_400000_NS6detail17trampoline_kernelINS0_14default_configENS1_20scan_config_selectorIiEEZZNS1_9scan_implILNS1_25lookback_scan_determinismE0ELb0ELb0ES3_N6thrust23THRUST_200600_302600_NS6detail15normal_iteratorINS9_10device_ptrIiEEEESE_iNS9_4plusIvEEiEEDaPvRmT3_T4_T5_mT6_P12ihipStream_tbENKUlT_T0_E_clISt17integral_constantIbLb1EEST_IbLb0EEEEDaSP_SQ_EUlSP_E_NS1_11comp_targetILNS1_3genE9ELNS1_11target_archE1100ELNS1_3gpuE3ELNS1_3repE0EEENS1_30default_config_static_selectorELNS0_4arch9wavefront6targetE0EEEvT1_
	.p2align	8
	.type	_ZN7rocprim17ROCPRIM_400000_NS6detail17trampoline_kernelINS0_14default_configENS1_20scan_config_selectorIiEEZZNS1_9scan_implILNS1_25lookback_scan_determinismE0ELb0ELb0ES3_N6thrust23THRUST_200600_302600_NS6detail15normal_iteratorINS9_10device_ptrIiEEEESE_iNS9_4plusIvEEiEEDaPvRmT3_T4_T5_mT6_P12ihipStream_tbENKUlT_T0_E_clISt17integral_constantIbLb1EEST_IbLb0EEEEDaSP_SQ_EUlSP_E_NS1_11comp_targetILNS1_3genE9ELNS1_11target_archE1100ELNS1_3gpuE3ELNS1_3repE0EEENS1_30default_config_static_selectorELNS0_4arch9wavefront6targetE0EEEvT1_,@function
_ZN7rocprim17ROCPRIM_400000_NS6detail17trampoline_kernelINS0_14default_configENS1_20scan_config_selectorIiEEZZNS1_9scan_implILNS1_25lookback_scan_determinismE0ELb0ELb0ES3_N6thrust23THRUST_200600_302600_NS6detail15normal_iteratorINS9_10device_ptrIiEEEESE_iNS9_4plusIvEEiEEDaPvRmT3_T4_T5_mT6_P12ihipStream_tbENKUlT_T0_E_clISt17integral_constantIbLb1EEST_IbLb0EEEEDaSP_SQ_EUlSP_E_NS1_11comp_targetILNS1_3genE9ELNS1_11target_archE1100ELNS1_3gpuE3ELNS1_3repE0EEENS1_30default_config_static_selectorELNS0_4arch9wavefront6targetE0EEEvT1_: ; @_ZN7rocprim17ROCPRIM_400000_NS6detail17trampoline_kernelINS0_14default_configENS1_20scan_config_selectorIiEEZZNS1_9scan_implILNS1_25lookback_scan_determinismE0ELb0ELb0ES3_N6thrust23THRUST_200600_302600_NS6detail15normal_iteratorINS9_10device_ptrIiEEEESE_iNS9_4plusIvEEiEEDaPvRmT3_T4_T5_mT6_P12ihipStream_tbENKUlT_T0_E_clISt17integral_constantIbLb1EEST_IbLb0EEEEDaSP_SQ_EUlSP_E_NS1_11comp_targetILNS1_3genE9ELNS1_11target_archE1100ELNS1_3gpuE3ELNS1_3repE0EEENS1_30default_config_static_selectorELNS0_4arch9wavefront6targetE0EEEvT1_
; %bb.0:
	s_clause 0x1
	s_load_b256 s[4:11], s[0:1], 0x0
	s_load_b32 s2, s[0:1], 0x30
	s_mov_b32 s3, 0
	v_lshlrev_b32_e32 v15, 2, v0
	v_lshrrev_b32_e32 v16, 3, v0
	v_or_b32_e32 v14, 0x100, v0
	v_or_b32_e32 v13, 0x200, v0
	v_or_b32_e32 v12, 0x300, v0
	s_waitcnt lgkmcnt(0)
	s_lshl_b64 s[6:7], s[6:7], 2
	s_delay_alu instid0(SALU_CYCLE_1) | instskip(SKIP_4) | instid1(SALU_CYCLE_1)
	s_add_u32 s12, s4, s6
	s_addc_u32 s13, s5, s7
	s_add_i32 s4, s2, -1
	s_lshl_b32 s2, s15, 10
	s_lshl_b32 s5, s4, 10
	s_sub_u32 s20, s10, s5
	s_subb_u32 s21, s11, 0
	s_cmp_lg_u32 s15, s4
	s_cselect_b32 s22, -1, 0
	s_lshl_b64 s[4:5], s[2:3], 2
	s_mov_b32 s3, -1
	s_add_u32 s12, s12, s4
	s_addc_u32 s13, s13, s5
	s_and_b32 vcc_lo, exec_lo, s22
	s_cbranch_vccz .LBB56_2
; %bb.1:
	v_add_co_u32 v1, s2, s12, v15
	s_delay_alu instid0(VALU_DEP_1)
	v_add_co_ci_u32_e64 v2, null, s13, 0, s2
	v_lshrrev_b32_e32 v6, 3, v13
	v_lshrrev_b32_e32 v7, 3, v12
	v_and_b32_e32 v8, 28, v16
	s_clause 0x3
	flat_load_b32 v3, v[1:2]
	flat_load_b32 v4, v[1:2] offset:1024
	flat_load_b32 v5, v[1:2] offset:2048
	;; [unrolled: 1-line block ×3, first 2 shown]
	v_lshrrev_b32_e32 v2, 3, v14
	v_and_b32_e32 v6, 0x5c, v6
	v_and_b32_e32 v7, 0x7c, v7
	v_add_nc_u32_e32 v8, v8, v15
	s_mov_b32 s3, 0
	v_and_b32_e32 v2, 60, v2
	v_add_nc_u32_e32 v6, v6, v15
	v_add_nc_u32_e32 v7, v7, v15
	s_delay_alu instid0(VALU_DEP_3)
	v_add_nc_u32_e32 v2, v2, v15
	s_waitcnt vmcnt(3) lgkmcnt(3)
	ds_store_b32 v8, v3
	s_waitcnt vmcnt(2) lgkmcnt(3)
	ds_store_b32 v2, v4 offset:1024
	s_waitcnt vmcnt(1) lgkmcnt(3)
	ds_store_b32 v6, v5 offset:2048
	;; [unrolled: 2-line block ×3, first 2 shown]
	s_waitcnt lgkmcnt(0)
	s_barrier
.LBB56_2:
	s_load_b64 s[10:11], s[0:1], 0x28
	v_cmp_gt_u32_e64 s2, s20, v0
	s_and_not1_b32 vcc_lo, exec_lo, s3
	s_cbranch_vccnz .LBB56_9
; %bb.3:
	v_dual_mov_b32 v1, s12 :: v_dual_mov_b32 v2, s13
	flat_load_b32 v1, v[1:2]
	s_waitcnt vmcnt(0) lgkmcnt(0)
	v_mov_b32_e32 v3, v1
	v_mov_b32_e32 v2, v1
	;; [unrolled: 1-line block ×3, first 2 shown]
	s_and_saveexec_b32 s3, s2
	s_cbranch_execnz .LBB56_59
; %bb.4:
	s_or_b32 exec_lo, exec_lo, s3
	s_delay_alu instid0(SALU_CYCLE_1)
	s_mov_b32 s2, exec_lo
	v_cmpx_gt_u32_e64 s20, v14
	s_cbranch_execnz .LBB56_60
.LBB56_5:
	s_or_b32 exec_lo, exec_lo, s2
	s_delay_alu instid0(SALU_CYCLE_1)
	s_mov_b32 s2, exec_lo
	v_cmpx_gt_u32_e64 s20, v13
	s_cbranch_execnz .LBB56_61
.LBB56_6:
	s_or_b32 exec_lo, exec_lo, s2
	s_delay_alu instid0(SALU_CYCLE_1)
	s_mov_b32 s2, exec_lo
	v_cmpx_gt_u32_e64 s20, v12
	s_cbranch_execz .LBB56_8
.LBB56_7:
	v_add_co_u32 v5, s3, s12, v15
	s_delay_alu instid0(VALU_DEP_1)
	v_add_co_ci_u32_e64 v6, null, s13, 0, s3
	flat_load_b32 v2, v[5:6] offset:3072
.LBB56_8:
	s_or_b32 exec_lo, exec_lo, s2
	v_lshrrev_b32_e32 v5, 3, v14
	v_lshrrev_b32_e32 v6, 3, v13
	v_lshrrev_b32_e32 v7, 3, v12
	v_and_b32_e32 v8, 28, v16
	s_delay_alu instid0(VALU_DEP_4) | instskip(NEXT) | instid1(VALU_DEP_4)
	v_and_b32_e32 v5, 60, v5
	v_and_b32_e32 v6, 0x7c, v6
	s_delay_alu instid0(VALU_DEP_4) | instskip(NEXT) | instid1(VALU_DEP_4)
	v_and_b32_e32 v7, 0x7c, v7
	v_add_nc_u32_e32 v8, v8, v15
	s_delay_alu instid0(VALU_DEP_4) | instskip(NEXT) | instid1(VALU_DEP_4)
	v_add_nc_u32_e32 v5, v5, v15
	v_add_nc_u32_e32 v6, v6, v15
	s_delay_alu instid0(VALU_DEP_4)
	v_add_nc_u32_e32 v7, v7, v15
	s_waitcnt vmcnt(0) lgkmcnt(0)
	ds_store_b32 v8, v4
	ds_store_b32 v5, v1 offset:1024
	ds_store_b32 v6, v3 offset:2048
	;; [unrolled: 1-line block ×3, first 2 shown]
	s_waitcnt lgkmcnt(0)
	s_barrier
.LBB56_9:
	v_add_lshl_u32 v3, v16, v15, 2
	s_waitcnt lgkmcnt(0)
	buffer_gl0_inv
	v_lshrrev_b32_e32 v17, 5, v0
	v_cmp_gt_u32_e32 vcc_lo, 32, v0
	s_cmp_lg_u32 s15, 0
	ds_load_2addr_b32 v[1:2], v3 offset1:1
	ds_load_2addr_b32 v[3:4], v3 offset0:2 offset1:3
	s_waitcnt lgkmcnt(0)
	s_barrier
	buffer_gl0_inv
	s_cbranch_scc0 .LBB56_38
; %bb.10:
	v_add_nc_u32_e32 v5, v2, v1
	v_add_lshl_u32 v6, v17, v0, 2
	s_delay_alu instid0(VALU_DEP_2)
	v_add3_u32 v5, v5, v3, v4
	ds_store_b32 v6, v5
	s_waitcnt lgkmcnt(0)
	s_barrier
	buffer_gl0_inv
	s_and_saveexec_b32 s3, vcc_lo
	s_cbranch_execz .LBB56_12
; %bb.11:
	v_and_b32_e32 v6, 0xfc, v0
	s_delay_alu instid0(VALU_DEP_1)
	v_lshl_or_b32 v20, v0, 5, v6
	ds_load_2addr_b32 v[6:7], v20 offset1:1
	ds_load_2addr_b32 v[8:9], v20 offset0:2 offset1:3
	ds_load_2addr_b32 v[10:11], v20 offset0:4 offset1:5
	;; [unrolled: 1-line block ×3, first 2 shown]
	; wave barrier
	s_waitcnt lgkmcnt(3)
	v_add_nc_u32_e32 v7, v7, v6
	s_waitcnt lgkmcnt(2)
	s_delay_alu instid0(VALU_DEP_1) | instskip(SKIP_2) | instid1(VALU_DEP_2)
	v_add3_u32 v7, v7, v8, v9
	v_mbcnt_lo_u32_b32 v8, -1, 0
	s_waitcnt lgkmcnt(1)
	v_add3_u32 v7, v7, v10, v11
	s_delay_alu instid0(VALU_DEP_2) | instskip(SKIP_2) | instid1(VALU_DEP_3)
	v_and_b32_e32 v9, 15, v8
	v_bfe_i32 v11, v8, 4, 1
	s_waitcnt lgkmcnt(0)
	v_add3_u32 v7, v7, v18, v19
	s_delay_alu instid0(VALU_DEP_3) | instskip(NEXT) | instid1(VALU_DEP_2)
	v_cmp_ne_u32_e64 s2, 0, v9
	v_mov_b32_dpp v10, v7 row_shr:1 row_mask:0xf bank_mask:0xf
	s_delay_alu instid0(VALU_DEP_1) | instskip(SKIP_1) | instid1(VALU_DEP_2)
	v_cndmask_b32_e64 v10, 0, v10, s2
	v_cmp_lt_u32_e64 s2, 1, v9
	v_add_nc_u32_e32 v7, v10, v7
	s_delay_alu instid0(VALU_DEP_1) | instskip(NEXT) | instid1(VALU_DEP_1)
	v_mov_b32_dpp v10, v7 row_shr:2 row_mask:0xf bank_mask:0xf
	v_cndmask_b32_e64 v10, 0, v10, s2
	v_cmp_lt_u32_e64 s2, 3, v9
	s_delay_alu instid0(VALU_DEP_2) | instskip(NEXT) | instid1(VALU_DEP_1)
	v_add_nc_u32_e32 v7, v7, v10
	v_mov_b32_dpp v10, v7 row_shr:4 row_mask:0xf bank_mask:0xf
	s_delay_alu instid0(VALU_DEP_1) | instskip(SKIP_1) | instid1(VALU_DEP_2)
	v_cndmask_b32_e64 v10, 0, v10, s2
	v_cmp_lt_u32_e64 s2, 7, v9
	v_add_nc_u32_e32 v7, v7, v10
	s_delay_alu instid0(VALU_DEP_1) | instskip(NEXT) | instid1(VALU_DEP_1)
	v_mov_b32_dpp v10, v7 row_shr:8 row_mask:0xf bank_mask:0xf
	v_cndmask_b32_e64 v9, 0, v10, s2
	v_add_nc_u32_e32 v10, -1, v8
	s_delay_alu instid0(VALU_DEP_2) | instskip(NEXT) | instid1(VALU_DEP_2)
	v_add_nc_u32_e32 v7, v7, v9
	v_cmp_gt_i32_e64 s2, 0, v10
	ds_swizzle_b32 v9, v7 offset:swizzle(BROADCAST,32,15)
	v_cndmask_b32_e64 v8, v10, v8, s2
	v_cmp_eq_u32_e64 s2, 0, v0
	s_delay_alu instid0(VALU_DEP_2) | instskip(SKIP_2) | instid1(VALU_DEP_1)
	v_lshlrev_b32_e32 v8, 2, v8
	s_waitcnt lgkmcnt(0)
	v_and_b32_e32 v9, v11, v9
	v_add_nc_u32_e32 v7, v7, v9
	ds_bpermute_b32 v7, v8, v7
	s_waitcnt lgkmcnt(0)
	v_add_nc_u32_e32 v6, v7, v6
	s_delay_alu instid0(VALU_DEP_1)
	v_cndmask_b32_e64 v11, v6, v5, s2
	ds_store_b32 v20, v11
	; wave barrier
	ds_load_2addr_b32 v[5:6], v20 offset0:1 offset1:2
	ds_load_2addr_b32 v[7:8], v20 offset0:3 offset1:4
	;; [unrolled: 1-line block ×3, first 2 shown]
	ds_load_b32 v18, v20 offset:28
	s_waitcnt lgkmcnt(3)
	v_add_nc_u32_e32 v5, v5, v11
	s_delay_alu instid0(VALU_DEP_1) | instskip(SKIP_1) | instid1(VALU_DEP_1)
	v_add_nc_u32_e32 v6, v6, v5
	s_waitcnt lgkmcnt(2)
	v_add_nc_u32_e32 v7, v7, v6
	s_delay_alu instid0(VALU_DEP_1) | instskip(SKIP_1) | instid1(VALU_DEP_1)
	v_add_nc_u32_e32 v8, v8, v7
	;; [unrolled: 4-line block ×3, first 2 shown]
	s_waitcnt lgkmcnt(0)
	v_add_nc_u32_e32 v11, v18, v10
	ds_store_2addr_b32 v20, v5, v6 offset0:1 offset1:2
	ds_store_2addr_b32 v20, v7, v8 offset0:3 offset1:4
	;; [unrolled: 1-line block ×3, first 2 shown]
	ds_store_b32 v20, v11 offset:28
.LBB56_12:
	s_or_b32 exec_lo, exec_lo, s3
	v_cmp_eq_u32_e64 s2, 0, v0
	v_mov_b32_e32 v18, 0
	s_mov_b32 s12, exec_lo
	s_waitcnt lgkmcnt(0)
	s_barrier
	buffer_gl0_inv
	v_cmpx_ne_u32_e32 0, v0
	s_cbranch_execz .LBB56_14
; %bb.13:
	v_add_nc_u32_e32 v5, -1, v0
	s_delay_alu instid0(VALU_DEP_1) | instskip(NEXT) | instid1(VALU_DEP_1)
	v_lshrrev_b32_e32 v6, 5, v5
	v_add_lshl_u32 v5, v6, v5, 2
	ds_load_b32 v18, v5
.LBB56_14:
	s_or_b32 exec_lo, exec_lo, s12
	s_and_saveexec_b32 s14, vcc_lo
	s_cbranch_execz .LBB56_37
; %bb.15:
	v_mov_b32_e32 v8, 0
	v_mbcnt_lo_u32_b32 v19, -1, 0
	s_mov_b32 s13, 0
	ds_load_b32 v5, v8 offset:1048
	v_cmp_eq_u32_e64 s3, 0, v19
	s_delay_alu instid0(VALU_DEP_1)
	s_and_saveexec_b32 s16, s3
	s_cbranch_execz .LBB56_17
; %bb.16:
	s_add_i32 s12, s15, 32
	v_mov_b32_e32 v6, 1
	s_lshl_b64 s[12:13], s[12:13], 3
	s_delay_alu instid0(SALU_CYCLE_1)
	s_add_u32 s12, s10, s12
	s_addc_u32 s13, s11, s13
	s_waitcnt lgkmcnt(0)
	global_store_b64 v8, v[5:6], s[12:13]
.LBB56_17:
	s_or_b32 exec_lo, exec_lo, s16
	v_xad_u32 v6, v19, -1, s15
	s_mov_b32 s12, exec_lo
	s_delay_alu instid0(VALU_DEP_1) | instskip(NEXT) | instid1(VALU_DEP_1)
	v_add_nc_u32_e32 v7, 32, v6
	v_lshlrev_b64 v[7:8], 3, v[7:8]
	s_delay_alu instid0(VALU_DEP_1) | instskip(NEXT) | instid1(VALU_DEP_2)
	v_add_co_u32 v10, vcc_lo, s10, v7
	v_add_co_ci_u32_e32 v11, vcc_lo, s11, v8, vcc_lo
	global_load_b64 v[8:9], v[10:11], off glc
	s_waitcnt vmcnt(0)
	v_and_b32_e32 v7, 0xff, v9
	s_delay_alu instid0(VALU_DEP_1)
	v_cmpx_eq_u16_e32 0, v7
	s_cbranch_execz .LBB56_23
; %bb.18:
	s_mov_b32 s16, 1
	s_mov_b32 s13, 0
	.p2align	6
.LBB56_19:                              ; =>This Loop Header: Depth=1
                                        ;     Child Loop BB56_20 Depth 2
	s_max_u32 s17, s16, 1
.LBB56_20:                              ;   Parent Loop BB56_19 Depth=1
                                        ; =>  This Inner Loop Header: Depth=2
	s_delay_alu instid0(SALU_CYCLE_1)
	s_add_i32 s17, s17, -1
	s_sleep 1
	s_cmp_eq_u32 s17, 0
	s_cbranch_scc0 .LBB56_20
; %bb.21:                               ;   in Loop: Header=BB56_19 Depth=1
	global_load_b64 v[8:9], v[10:11], off glc
	s_cmp_lt_u32 s16, 32
	s_cselect_b32 s17, -1, 0
	s_delay_alu instid0(SALU_CYCLE_1) | instskip(SKIP_3) | instid1(VALU_DEP_1)
	s_cmp_lg_u32 s17, 0
	s_addc_u32 s16, s16, 0
	s_waitcnt vmcnt(0)
	v_and_b32_e32 v7, 0xff, v9
	v_cmp_ne_u16_e32 vcc_lo, 0, v7
	s_or_b32 s13, vcc_lo, s13
	s_delay_alu instid0(SALU_CYCLE_1)
	s_and_not1_b32 exec_lo, exec_lo, s13
	s_cbranch_execnz .LBB56_19
; %bb.22:
	s_or_b32 exec_lo, exec_lo, s13
.LBB56_23:
	s_delay_alu instid0(SALU_CYCLE_1)
	s_or_b32 exec_lo, exec_lo, s12
	v_cmp_ne_u32_e32 vcc_lo, 31, v19
	v_lshlrev_b32_e64 v21, v19, -1
	v_add_nc_u32_e32 v23, 2, v19
	v_add_nc_u32_e32 v25, 4, v19
	v_add_nc_u32_e32 v28, 8, v19
	v_add_co_ci_u32_e32 v7, vcc_lo, 0, v19, vcc_lo
	v_add_nc_u32_e32 v30, 16, v19
	s_delay_alu instid0(VALU_DEP_2) | instskip(SKIP_2) | instid1(VALU_DEP_1)
	v_lshlrev_b32_e32 v20, 2, v7
	ds_bpermute_b32 v10, v20, v8
	v_and_b32_e32 v7, 0xff, v9
	v_cmp_eq_u16_e32 vcc_lo, 2, v7
	v_and_or_b32 v7, vcc_lo, v21, 0x80000000
	v_cmp_gt_u32_e32 vcc_lo, 30, v19
	s_delay_alu instid0(VALU_DEP_2) | instskip(SKIP_1) | instid1(VALU_DEP_2)
	v_ctz_i32_b32_e32 v7, v7
	v_cndmask_b32_e64 v11, 0, 1, vcc_lo
	v_cmp_lt_u32_e32 vcc_lo, v19, v7
	s_waitcnt lgkmcnt(0)
	s_delay_alu instid0(VALU_DEP_2) | instskip(NEXT) | instid1(VALU_DEP_1)
	v_dual_cndmask_b32 v10, 0, v10 :: v_dual_lshlrev_b32 v11, 1, v11
	v_add_lshl_u32 v22, v11, v19, 2
	v_cmp_gt_u32_e32 vcc_lo, 28, v19
	s_delay_alu instid0(VALU_DEP_3) | instskip(SKIP_4) | instid1(VALU_DEP_1)
	v_add_nc_u32_e32 v8, v10, v8
	v_cndmask_b32_e64 v11, 0, 1, vcc_lo
	v_cmp_le_u32_e32 vcc_lo, v23, v7
	ds_bpermute_b32 v10, v22, v8
	v_lshlrev_b32_e32 v11, 2, v11
	v_add_lshl_u32 v24, v11, v19, 2
	s_waitcnt lgkmcnt(0)
	v_cndmask_b32_e32 v10, 0, v10, vcc_lo
	v_cmp_gt_u32_e32 vcc_lo, 24, v19
	s_delay_alu instid0(VALU_DEP_2) | instskip(SKIP_4) | instid1(VALU_DEP_1)
	v_add_nc_u32_e32 v8, v8, v10
	v_cndmask_b32_e64 v11, 0, 1, vcc_lo
	v_cmp_le_u32_e32 vcc_lo, v25, v7
	ds_bpermute_b32 v10, v24, v8
	v_lshlrev_b32_e32 v11, 3, v11
	v_add_lshl_u32 v27, v11, v19, 2
	s_waitcnt lgkmcnt(0)
	v_cndmask_b32_e32 v10, 0, v10, vcc_lo
	v_cmp_gt_u32_e32 vcc_lo, 16, v19
	s_delay_alu instid0(VALU_DEP_2) | instskip(SKIP_4) | instid1(VALU_DEP_1)
	v_add_nc_u32_e32 v8, v8, v10
	v_cndmask_b32_e64 v11, 0, 1, vcc_lo
	v_cmp_le_u32_e32 vcc_lo, v28, v7
	ds_bpermute_b32 v10, v27, v8
	v_lshlrev_b32_e32 v11, 4, v11
	v_add_lshl_u32 v29, v11, v19, 2
	s_waitcnt lgkmcnt(0)
	v_cndmask_b32_e32 v10, 0, v10, vcc_lo
	v_cmp_le_u32_e32 vcc_lo, v30, v7
	s_delay_alu instid0(VALU_DEP_2) | instskip(SKIP_3) | instid1(VALU_DEP_1)
	v_add_nc_u32_e32 v8, v8, v10
	ds_bpermute_b32 v10, v29, v8
	s_waitcnt lgkmcnt(0)
	v_cndmask_b32_e32 v7, 0, v10, vcc_lo
	v_dual_mov_b32 v7, 0 :: v_dual_add_nc_u32 v8, v8, v7
	s_branch .LBB56_25
.LBB56_24:                              ;   in Loop: Header=BB56_25 Depth=1
	s_or_b32 exec_lo, exec_lo, s12
	ds_bpermute_b32 v11, v20, v8
	v_and_b32_e32 v10, 0xff, v9
	v_subrev_nc_u32_e32 v6, 32, v6
	s_delay_alu instid0(VALU_DEP_2) | instskip(SKIP_1) | instid1(VALU_DEP_1)
	v_cmp_eq_u16_e32 vcc_lo, 2, v10
	v_and_or_b32 v10, vcc_lo, v21, 0x80000000
	v_ctz_i32_b32_e32 v10, v10
	s_delay_alu instid0(VALU_DEP_1) | instskip(SKIP_3) | instid1(VALU_DEP_2)
	v_cmp_lt_u32_e32 vcc_lo, v19, v10
	s_waitcnt lgkmcnt(0)
	v_cndmask_b32_e32 v11, 0, v11, vcc_lo
	v_cmp_le_u32_e32 vcc_lo, v23, v10
	v_add_nc_u32_e32 v8, v11, v8
	ds_bpermute_b32 v11, v22, v8
	s_waitcnt lgkmcnt(0)
	v_cndmask_b32_e32 v11, 0, v11, vcc_lo
	v_cmp_le_u32_e32 vcc_lo, v25, v10
	s_delay_alu instid0(VALU_DEP_2) | instskip(SKIP_4) | instid1(VALU_DEP_2)
	v_add_nc_u32_e32 v8, v8, v11
	ds_bpermute_b32 v11, v24, v8
	s_waitcnt lgkmcnt(0)
	v_cndmask_b32_e32 v11, 0, v11, vcc_lo
	v_cmp_le_u32_e32 vcc_lo, v28, v10
	v_add_nc_u32_e32 v8, v8, v11
	ds_bpermute_b32 v11, v27, v8
	s_waitcnt lgkmcnt(0)
	v_cndmask_b32_e32 v11, 0, v11, vcc_lo
	v_cmp_le_u32_e32 vcc_lo, v30, v10
	s_delay_alu instid0(VALU_DEP_2) | instskip(SKIP_3) | instid1(VALU_DEP_1)
	v_add_nc_u32_e32 v8, v8, v11
	ds_bpermute_b32 v11, v29, v8
	s_waitcnt lgkmcnt(0)
	v_cndmask_b32_e32 v10, 0, v11, vcc_lo
	v_add3_u32 v8, v10, v26, v8
.LBB56_25:                              ; =>This Loop Header: Depth=1
                                        ;     Child Loop BB56_28 Depth 2
                                        ;       Child Loop BB56_29 Depth 3
	s_delay_alu instid0(VALU_DEP_1) | instskip(NEXT) | instid1(VALU_DEP_1)
	v_dual_mov_b32 v26, v8 :: v_dual_and_b32 v9, 0xff, v9
	v_cmp_ne_u16_e32 vcc_lo, 2, v9
	v_cndmask_b32_e64 v9, 0, 1, vcc_lo
	;;#ASMSTART
	;;#ASMEND
	s_delay_alu instid0(VALU_DEP_1)
	v_cmp_ne_u32_e32 vcc_lo, 0, v9
	s_cmp_lg_u32 vcc_lo, exec_lo
	s_cbranch_scc1 .LBB56_32
; %bb.26:                               ;   in Loop: Header=BB56_25 Depth=1
	v_lshlrev_b64 v[8:9], 3, v[6:7]
	s_mov_b32 s12, exec_lo
	s_delay_alu instid0(VALU_DEP_1) | instskip(NEXT) | instid1(VALU_DEP_2)
	v_add_co_u32 v10, vcc_lo, s10, v8
	v_add_co_ci_u32_e32 v11, vcc_lo, s11, v9, vcc_lo
	global_load_b64 v[8:9], v[10:11], off glc
	s_waitcnt vmcnt(0)
	v_and_b32_e32 v31, 0xff, v9
	s_delay_alu instid0(VALU_DEP_1)
	v_cmpx_eq_u16_e32 0, v31
	s_cbranch_execz .LBB56_24
; %bb.27:                               ;   in Loop: Header=BB56_25 Depth=1
	s_mov_b32 s16, 1
	s_mov_b32 s13, 0
	.p2align	6
.LBB56_28:                              ;   Parent Loop BB56_25 Depth=1
                                        ; =>  This Loop Header: Depth=2
                                        ;       Child Loop BB56_29 Depth 3
	s_max_u32 s17, s16, 1
.LBB56_29:                              ;   Parent Loop BB56_25 Depth=1
                                        ;     Parent Loop BB56_28 Depth=2
                                        ; =>    This Inner Loop Header: Depth=3
	s_delay_alu instid0(SALU_CYCLE_1)
	s_add_i32 s17, s17, -1
	s_sleep 1
	s_cmp_eq_u32 s17, 0
	s_cbranch_scc0 .LBB56_29
; %bb.30:                               ;   in Loop: Header=BB56_28 Depth=2
	global_load_b64 v[8:9], v[10:11], off glc
	s_cmp_lt_u32 s16, 32
	s_cselect_b32 s17, -1, 0
	s_delay_alu instid0(SALU_CYCLE_1) | instskip(SKIP_3) | instid1(VALU_DEP_1)
	s_cmp_lg_u32 s17, 0
	s_addc_u32 s16, s16, 0
	s_waitcnt vmcnt(0)
	v_and_b32_e32 v31, 0xff, v9
	v_cmp_ne_u16_e32 vcc_lo, 0, v31
	s_or_b32 s13, vcc_lo, s13
	s_delay_alu instid0(SALU_CYCLE_1)
	s_and_not1_b32 exec_lo, exec_lo, s13
	s_cbranch_execnz .LBB56_28
; %bb.31:                               ;   in Loop: Header=BB56_25 Depth=1
	s_or_b32 exec_lo, exec_lo, s13
	s_branch .LBB56_24
.LBB56_32:                              ;   in Loop: Header=BB56_25 Depth=1
                                        ; implicit-def: $vgpr8
                                        ; implicit-def: $vgpr9
	s_cbranch_execz .LBB56_25
; %bb.33:
	s_and_saveexec_b32 s12, s3
	s_cbranch_execz .LBB56_35
; %bb.34:
	s_add_i32 s16, s15, 32
	s_mov_b32 s17, 0
	v_dual_mov_b32 v6, 2 :: v_dual_add_nc_u32 v5, v26, v5
	s_lshl_b64 s[16:17], s[16:17], 3
	v_mov_b32_e32 v7, 0
	s_add_u32 s16, s10, s16
	s_addc_u32 s17, s11, s17
	global_store_b64 v7, v[5:6], s[16:17]
.LBB56_35:
	s_or_b32 exec_lo, exec_lo, s12
	s_delay_alu instid0(SALU_CYCLE_1)
	s_and_b32 exec_lo, exec_lo, s2
	s_cbranch_execz .LBB56_37
; %bb.36:
	v_mov_b32_e32 v5, 0
	ds_store_b32 v5, v26
.LBB56_37:
	s_or_b32 exec_lo, exec_lo, s14
	v_mov_b32_e32 v5, 0
	s_waitcnt lgkmcnt(0)
	s_waitcnt_vscnt null, 0x0
	s_barrier
	buffer_gl0_inv
	ds_load_b32 v5, v5
	s_waitcnt lgkmcnt(0)
	v_add3_u32 v6, v18, v1, v5
	s_delay_alu instid0(VALU_DEP_1) | instskip(NEXT) | instid1(VALU_DEP_1)
	v_add_nc_u32_e32 v7, v6, v2
	v_add_nc_u32_e32 v8, v7, v3
	s_delay_alu instid0(VALU_DEP_1)
	v_add_nc_u32_e32 v5, v8, v4
	s_load_b256 s[12:19], s[0:1], 0x38
	s_branch .LBB56_50
.LBB56_38:
                                        ; implicit-def: $vgpr5
                                        ; implicit-def: $vgpr8
                                        ; implicit-def: $vgpr7
                                        ; implicit-def: $vgpr6
	s_load_b256 s[12:19], s[0:1], 0x38
	s_cbranch_execz .LBB56_50
; %bb.39:
	v_cmp_eq_u32_e64 s0, 0, v0
	s_waitcnt lgkmcnt(0)
	s_cmp_lg_u64 s[16:17], 0
	v_cmp_ne_u32_e32 vcc_lo, 0, v0
	s_cselect_b32 s1, -1, 0
	s_delay_alu instid0(SALU_CYCLE_1) | instskip(NEXT) | instid1(SALU_CYCLE_1)
	s_and_b32 s2, s0, s1
	s_and_saveexec_b32 s1, s2
	s_cbranch_execz .LBB56_41
; %bb.40:
	v_mov_b32_e32 v5, 0
	global_load_b32 v5, v5, s[12:13]
	s_waitcnt vmcnt(0)
	v_add_nc_u32_e32 v1, v5, v1
.LBB56_41:
	s_or_b32 exec_lo, exec_lo, s1
	s_delay_alu instid0(VALU_DEP_1) | instskip(SKIP_2) | instid1(VALU_DEP_2)
	v_add_nc_u32_e32 v7, v2, v1
	v_add_lshl_u32 v6, v17, v0, 2
	s_mov_b32 s2, exec_lo
	v_add_nc_u32_e32 v8, v7, v3
	s_delay_alu instid0(VALU_DEP_1)
	v_add_nc_u32_e32 v5, v8, v4
	ds_store_b32 v6, v5
	s_waitcnt lgkmcnt(0)
	s_barrier
	buffer_gl0_inv
	v_cmpx_gt_u32_e32 32, v0
	s_cbranch_execz .LBB56_43
; %bb.42:
	v_and_b32_e32 v6, 0xfc, v0
	v_mbcnt_lo_u32_b32 v11, -1, 0
	s_delay_alu instid0(VALU_DEP_2)
	v_lshl_or_b32 v6, v0, 5, v6
	ds_load_2addr_b32 v[9:10], v6 offset1:1
	ds_load_2addr_b32 v[18:19], v6 offset0:2 offset1:3
	ds_load_2addr_b32 v[20:21], v6 offset0:4 offset1:5
	;; [unrolled: 1-line block ×3, first 2 shown]
	; wave barrier
	s_waitcnt lgkmcnt(3)
	v_add_nc_u32_e32 v10, v10, v9
	s_waitcnt lgkmcnt(2)
	s_delay_alu instid0(VALU_DEP_1) | instskip(SKIP_2) | instid1(VALU_DEP_2)
	v_add3_u32 v10, v10, v18, v19
	v_and_b32_e32 v18, 15, v11
	s_waitcnt lgkmcnt(1)
	v_add3_u32 v10, v10, v20, v21
	s_delay_alu instid0(VALU_DEP_2) | instskip(SKIP_2) | instid1(VALU_DEP_3)
	v_cmp_ne_u32_e64 s1, 0, v18
	v_bfe_i32 v20, v11, 4, 1
	s_waitcnt lgkmcnt(0)
	v_add3_u32 v10, v10, v22, v23
	s_delay_alu instid0(VALU_DEP_1) | instskip(NEXT) | instid1(VALU_DEP_1)
	v_mov_b32_dpp v19, v10 row_shr:1 row_mask:0xf bank_mask:0xf
	v_cndmask_b32_e64 v19, 0, v19, s1
	v_cmp_lt_u32_e64 s1, 1, v18
	s_delay_alu instid0(VALU_DEP_2) | instskip(NEXT) | instid1(VALU_DEP_1)
	v_add_nc_u32_e32 v10, v19, v10
	v_mov_b32_dpp v19, v10 row_shr:2 row_mask:0xf bank_mask:0xf
	s_delay_alu instid0(VALU_DEP_1) | instskip(SKIP_1) | instid1(VALU_DEP_2)
	v_cndmask_b32_e64 v19, 0, v19, s1
	v_cmp_lt_u32_e64 s1, 3, v18
	v_add_nc_u32_e32 v10, v10, v19
	s_delay_alu instid0(VALU_DEP_1) | instskip(NEXT) | instid1(VALU_DEP_1)
	v_mov_b32_dpp v19, v10 row_shr:4 row_mask:0xf bank_mask:0xf
	v_cndmask_b32_e64 v19, 0, v19, s1
	v_cmp_lt_u32_e64 s1, 7, v18
	s_delay_alu instid0(VALU_DEP_2) | instskip(NEXT) | instid1(VALU_DEP_1)
	v_add_nc_u32_e32 v10, v10, v19
	v_mov_b32_dpp v19, v10 row_shr:8 row_mask:0xf bank_mask:0xf
	s_delay_alu instid0(VALU_DEP_1) | instskip(SKIP_1) | instid1(VALU_DEP_2)
	v_cndmask_b32_e64 v18, 0, v19, s1
	v_add_nc_u32_e32 v19, -1, v11
	v_add_nc_u32_e32 v10, v10, v18
	s_delay_alu instid0(VALU_DEP_2) | instskip(SKIP_2) | instid1(VALU_DEP_1)
	v_cmp_gt_i32_e64 s1, 0, v19
	ds_swizzle_b32 v18, v10 offset:swizzle(BROADCAST,32,15)
	v_cndmask_b32_e64 v11, v19, v11, s1
	v_lshlrev_b32_e32 v11, 2, v11
	s_waitcnt lgkmcnt(0)
	v_and_b32_e32 v18, v20, v18
	s_delay_alu instid0(VALU_DEP_1) | instskip(SKIP_3) | instid1(VALU_DEP_1)
	v_add_nc_u32_e32 v10, v10, v18
	ds_bpermute_b32 v10, v11, v10
	s_waitcnt lgkmcnt(0)
	v_add_nc_u32_e32 v9, v10, v9
	v_cndmask_b32_e64 v11, v9, v5, s0
	ds_store_b32 v6, v11
	; wave barrier
	ds_load_2addr_b32 v[9:10], v6 offset0:1 offset1:2
	ds_load_2addr_b32 v[18:19], v6 offset0:3 offset1:4
	;; [unrolled: 1-line block ×3, first 2 shown]
	ds_load_b32 v22, v6 offset:28
	s_waitcnt lgkmcnt(3)
	v_add_nc_u32_e32 v9, v9, v11
	s_delay_alu instid0(VALU_DEP_1) | instskip(SKIP_1) | instid1(VALU_DEP_1)
	v_add_nc_u32_e32 v10, v10, v9
	s_waitcnt lgkmcnt(2)
	v_add_nc_u32_e32 v11, v18, v10
	s_delay_alu instid0(VALU_DEP_1) | instskip(SKIP_1) | instid1(VALU_DEP_1)
	v_add_nc_u32_e32 v18, v19, v11
	;; [unrolled: 4-line block ×3, first 2 shown]
	s_waitcnt lgkmcnt(0)
	v_add_nc_u32_e32 v21, v22, v20
	ds_store_2addr_b32 v6, v9, v10 offset0:1 offset1:2
	ds_store_2addr_b32 v6, v11, v18 offset0:3 offset1:4
	;; [unrolled: 1-line block ×3, first 2 shown]
	ds_store_b32 v6, v21 offset:28
.LBB56_43:
	s_or_b32 exec_lo, exec_lo, s2
	v_mov_b32_e32 v6, v5
	s_waitcnt lgkmcnt(0)
	s_barrier
	buffer_gl0_inv
	s_and_saveexec_b32 s0, vcc_lo
	s_cbranch_execz .LBB56_45
; %bb.44:
	v_add_nc_u32_e32 v6, -1, v0
	s_delay_alu instid0(VALU_DEP_1) | instskip(NEXT) | instid1(VALU_DEP_1)
	v_lshrrev_b32_e32 v9, 5, v6
	v_add_lshl_u32 v6, v9, v6, 2
	ds_load_b32 v6, v6
.LBB56_45:
	s_or_b32 exec_lo, exec_lo, s0
	s_and_saveexec_b32 s0, vcc_lo
	s_cbranch_execz .LBB56_47
; %bb.46:
	s_waitcnt lgkmcnt(0)
	v_add_nc_u32_e32 v1, v6, v1
	;;#ASMSTART
	;;#ASMEND
	s_delay_alu instid0(VALU_DEP_1) | instskip(NEXT) | instid1(VALU_DEP_1)
	v_add_nc_u32_e32 v7, v1, v2
	v_add_nc_u32_e32 v8, v7, v3
	s_delay_alu instid0(VALU_DEP_1)
	v_add_nc_u32_e32 v5, v8, v4
.LBB56_47:
	s_or_b32 exec_lo, exec_lo, s0
	s_delay_alu instid0(SALU_CYCLE_1)
	s_mov_b32 s0, exec_lo
	v_cmpx_eq_u32_e32 0xff, v0
	s_cbranch_execz .LBB56_49
; %bb.48:
	v_mov_b32_e32 v2, 0
	s_waitcnt lgkmcnt(0)
	v_mov_b32_e32 v6, 2
	global_store_b64 v2, v[5:6], s[10:11] offset:256
.LBB56_49:
	s_or_b32 exec_lo, exec_lo, s0
	s_waitcnt lgkmcnt(0)
	v_mov_b32_e32 v6, v1
.LBB56_50:
	s_add_u32 s0, s8, s6
	v_lshlrev_b32_e32 v1, 4, v0
	s_addc_u32 s1, s9, s7
	s_add_u32 s0, s0, s4
	s_addc_u32 s1, s1, s5
	s_and_b32 vcc_lo, exec_lo, s22
	s_mov_b32 s2, -1
	s_waitcnt lgkmcnt(0)
	s_waitcnt_vscnt null, 0x0
	s_barrier
	buffer_gl0_inv
	s_cbranch_vccz .LBB56_52
; %bb.51:
	v_lshl_add_u32 v2, v16, 2, v1
	v_lshrrev_b32_e32 v3, 5, v14
	v_lshrrev_b32_e32 v4, 5, v13
	v_add_lshl_u32 v9, v17, v0, 2
	ds_store_2addr_b32 v2, v6, v7 offset1:1
	ds_store_2addr_b32 v2, v8, v5 offset0:2 offset1:3
	v_lshrrev_b32_e32 v2, 5, v12
	v_add_lshl_u32 v3, v3, v0, 2
	v_add_lshl_u32 v4, v4, v0, 2
	s_waitcnt lgkmcnt(0)
	s_barrier
	v_add_lshl_u32 v2, v2, v0, 2
	buffer_gl0_inv
	ds_load_b32 v9, v9
	ds_load_b32 v10, v3 offset:1024
	ds_load_b32 v4, v4 offset:2048
	;; [unrolled: 1-line block ×3, first 2 shown]
	v_add_co_u32 v2, s2, s0, v15
	s_delay_alu instid0(VALU_DEP_1)
	v_add_co_ci_u32_e64 v3, null, s1, 0, s2
	s_mov_b32 s2, 0
	s_waitcnt lgkmcnt(3)
	flat_store_b32 v[2:3], v9
	s_waitcnt lgkmcnt(3)
	flat_store_b32 v[2:3], v10 offset:1024
	s_waitcnt lgkmcnt(3)
	flat_store_b32 v[2:3], v4 offset:2048
	;; [unrolled: 2-line block ×3, first 2 shown]
.LBB56_52:
	s_and_not1_b32 vcc_lo, exec_lo, s2
	s_cbranch_vccnz .LBB56_58
; %bb.53:
	v_lshl_add_u32 v1, v16, 2, v1
	v_lshrrev_b32_e32 v2, 5, v14
	v_lshrrev_b32_e32 v3, 5, v13
	v_add_lshl_u32 v4, v17, v0, 2
	ds_store_2addr_b32 v1, v6, v7 offset1:1
	ds_store_2addr_b32 v1, v8, v5 offset0:2 offset1:3
	v_lshrrev_b32_e32 v1, 5, v12
	v_add_lshl_u32 v2, v2, v0, 2
	v_add_lshl_u32 v3, v3, v0, 2
	s_waitcnt lgkmcnt(0)
	s_waitcnt_vscnt null, 0x0
	s_barrier
	v_add_lshl_u32 v1, v1, v0, 2
	buffer_gl0_inv
	ds_load_b32 v5, v4
	ds_load_b32 v4, v2 offset:1024
	ds_load_b32 v6, v3 offset:2048
	;; [unrolled: 1-line block ×3, first 2 shown]
	v_add_co_u32 v2, s0, s0, v15
	v_mov_b32_e32 v1, 0
	v_add_co_ci_u32_e64 v3, null, s1, 0, s0
	s_mov_b32 s0, exec_lo
	v_cmpx_gt_u32_e64 s20, v0
	s_cbranch_execnz .LBB56_62
; %bb.54:
	s_or_b32 exec_lo, exec_lo, s0
	s_delay_alu instid0(SALU_CYCLE_1)
	s_mov_b32 s0, exec_lo
	v_cmpx_gt_u32_e64 s20, v14
	s_cbranch_execnz .LBB56_63
.LBB56_55:
	s_or_b32 exec_lo, exec_lo, s0
	s_delay_alu instid0(SALU_CYCLE_1)
	s_mov_b32 s0, exec_lo
	v_cmpx_gt_u32_e64 s20, v13
	s_cbranch_execnz .LBB56_64
.LBB56_56:
	s_or_b32 exec_lo, exec_lo, s0
	s_delay_alu instid0(SALU_CYCLE_1)
	s_mov_b32 s0, exec_lo
	v_cmpx_gt_u32_e64 s20, v12
	s_cbranch_execnz .LBB56_65
.LBB56_57:
	s_or_b32 exec_lo, exec_lo, s0
	v_cmp_lt_u64_e64 s0, s[18:19], 2
	s_delay_alu instid0(VALU_DEP_1)
	s_and_b32 vcc_lo, exec_lo, s0
	s_cbranch_vccz .LBB56_66
.LBB56_58:
	s_endpgm
.LBB56_59:
	v_add_co_u32 v4, s2, s12, v15
	s_delay_alu instid0(VALU_DEP_1) | instskip(SKIP_2) | instid1(SALU_CYCLE_1)
	v_add_co_ci_u32_e64 v5, null, s13, 0, s2
	flat_load_b32 v4, v[4:5]
	s_or_b32 exec_lo, exec_lo, s3
	s_mov_b32 s2, exec_lo
	v_cmpx_gt_u32_e64 s20, v14
	s_cbranch_execz .LBB56_5
.LBB56_60:
	v_add_co_u32 v5, s3, s12, v15
	s_delay_alu instid0(VALU_DEP_1) | instskip(SKIP_2) | instid1(SALU_CYCLE_1)
	v_add_co_ci_u32_e64 v6, null, s13, 0, s3
	flat_load_b32 v1, v[5:6] offset:1024
	s_or_b32 exec_lo, exec_lo, s2
	s_mov_b32 s2, exec_lo
	v_cmpx_gt_u32_e64 s20, v13
	s_cbranch_execz .LBB56_6
.LBB56_61:
	v_add_co_u32 v5, s3, s12, v15
	s_delay_alu instid0(VALU_DEP_1) | instskip(SKIP_2) | instid1(SALU_CYCLE_1)
	v_add_co_ci_u32_e64 v6, null, s13, 0, s3
	flat_load_b32 v3, v[5:6] offset:2048
	s_or_b32 exec_lo, exec_lo, s2
	s_mov_b32 s2, exec_lo
	v_cmpx_gt_u32_e64 s20, v12
	s_cbranch_execnz .LBB56_7
	s_branch .LBB56_8
.LBB56_62:
	s_waitcnt lgkmcnt(3)
	flat_store_b32 v[2:3], v5
	s_or_b32 exec_lo, exec_lo, s0
	s_delay_alu instid0(SALU_CYCLE_1)
	s_mov_b32 s0, exec_lo
	v_cmpx_gt_u32_e64 s20, v14
	s_cbranch_execz .LBB56_55
.LBB56_63:
	s_waitcnt lgkmcnt(2)
	flat_store_b32 v[2:3], v4 offset:1024
	s_or_b32 exec_lo, exec_lo, s0
	s_delay_alu instid0(SALU_CYCLE_1)
	s_mov_b32 s0, exec_lo
	v_cmpx_gt_u32_e64 s20, v13
	s_cbranch_execz .LBB56_56
.LBB56_64:
	s_waitcnt lgkmcnt(1)
	flat_store_b32 v[2:3], v6 offset:2048
	s_or_b32 exec_lo, exec_lo, s0
	s_delay_alu instid0(SALU_CYCLE_1)
	s_mov_b32 s0, exec_lo
	v_cmpx_gt_u32_e64 s20, v12
	s_cbranch_execz .LBB56_57
.LBB56_65:
	s_waitcnt lgkmcnt(0)
	flat_store_b32 v[2:3], v7 offset:3072
	s_or_b32 exec_lo, exec_lo, s0
	v_cmp_lt_u64_e64 s0, s[18:19], 2
	s_delay_alu instid0(VALU_DEP_1)
	s_and_b32 vcc_lo, exec_lo, s0
	s_cbranch_vccnz .LBB56_58
.LBB56_66:
	s_add_u32 s0, s20, -1
	s_addc_u32 s1, s21, -1
	s_delay_alu instid0(SALU_CYCLE_1)
	s_lshr_b64 s[2:3], s[0:1], 2
	s_mov_b32 s1, exec_lo
	v_cmpx_eq_u64_e64 s[2:3], v[0:1]
	s_cbranch_execz .LBB56_58
; %bb.67:
	s_and_b32 s0, s0, 3
	s_mov_b32 s1, 0
	s_delay_alu instid0(SALU_CYCLE_1) | instskip(NEXT) | instid1(VALU_DEP_1)
	v_cmp_lt_i64_e64 s2, s[0:1], 2
	s_and_b32 vcc_lo, exec_lo, s2
	s_mov_b32 s2, -1
	s_cbranch_vccnz .LBB56_73
; %bb.68:
	v_cmp_gt_i64_e64 s2, s[0:1], 2
	s_delay_alu instid0(VALU_DEP_1)
	s_and_b32 vcc_lo, exec_lo, s2
	s_mov_b32 s2, -1
	s_cbranch_vccz .LBB56_70
; %bb.69:
	v_mov_b32_e32 v0, 0
	s_mov_b32 s2, 0
	s_waitcnt lgkmcnt(0)
	global_store_b32 v0, v7, s[14:15]
.LBB56_70:
	s_and_not1_b32 vcc_lo, exec_lo, s2
	s_cbranch_vccnz .LBB56_72
; %bb.71:
	v_mov_b32_e32 v0, 0
	s_waitcnt lgkmcnt(1)
	global_store_b32 v0, v6, s[14:15]
.LBB56_72:
	s_mov_b32 s2, 0
.LBB56_73:
	s_delay_alu instid0(SALU_CYCLE_1)
	s_and_not1_b32 vcc_lo, exec_lo, s2
	s_cbranch_vccnz .LBB56_58
; %bb.74:
	s_cmp_eq_u64 s[0:1], 1
	s_mov_b32 s0, -1
	s_cbranch_scc1 .LBB56_76
; %bb.75:
	v_mov_b32_e32 v0, 0
	s_mov_b32 s0, 0
	s_waitcnt lgkmcnt(3)
	global_store_b32 v0, v5, s[14:15]
.LBB56_76:
	s_and_not1_b32 vcc_lo, exec_lo, s0
	s_cbranch_vccnz .LBB56_58
; %bb.77:
	v_mov_b32_e32 v0, 0
	s_waitcnt lgkmcnt(2)
	global_store_b32 v0, v4, s[14:15]
	s_endpgm
	.section	.rodata,"a",@progbits
	.p2align	6, 0x0
	.amdhsa_kernel _ZN7rocprim17ROCPRIM_400000_NS6detail17trampoline_kernelINS0_14default_configENS1_20scan_config_selectorIiEEZZNS1_9scan_implILNS1_25lookback_scan_determinismE0ELb0ELb0ES3_N6thrust23THRUST_200600_302600_NS6detail15normal_iteratorINS9_10device_ptrIiEEEESE_iNS9_4plusIvEEiEEDaPvRmT3_T4_T5_mT6_P12ihipStream_tbENKUlT_T0_E_clISt17integral_constantIbLb1EEST_IbLb0EEEEDaSP_SQ_EUlSP_E_NS1_11comp_targetILNS1_3genE9ELNS1_11target_archE1100ELNS1_3gpuE3ELNS1_3repE0EEENS1_30default_config_static_selectorELNS0_4arch9wavefront6targetE0EEEvT1_
		.amdhsa_group_segment_fixed_size 4224
		.amdhsa_private_segment_fixed_size 0
		.amdhsa_kernarg_size 96
		.amdhsa_user_sgpr_count 15
		.amdhsa_user_sgpr_dispatch_ptr 0
		.amdhsa_user_sgpr_queue_ptr 0
		.amdhsa_user_sgpr_kernarg_segment_ptr 1
		.amdhsa_user_sgpr_dispatch_id 0
		.amdhsa_user_sgpr_private_segment_size 0
		.amdhsa_wavefront_size32 1
		.amdhsa_uses_dynamic_stack 0
		.amdhsa_enable_private_segment 0
		.amdhsa_system_sgpr_workgroup_id_x 1
		.amdhsa_system_sgpr_workgroup_id_y 0
		.amdhsa_system_sgpr_workgroup_id_z 0
		.amdhsa_system_sgpr_workgroup_info 0
		.amdhsa_system_vgpr_workitem_id 0
		.amdhsa_next_free_vgpr 32
		.amdhsa_next_free_sgpr 23
		.amdhsa_reserve_vcc 1
		.amdhsa_float_round_mode_32 0
		.amdhsa_float_round_mode_16_64 0
		.amdhsa_float_denorm_mode_32 3
		.amdhsa_float_denorm_mode_16_64 3
		.amdhsa_dx10_clamp 1
		.amdhsa_ieee_mode 1
		.amdhsa_fp16_overflow 0
		.amdhsa_workgroup_processor_mode 1
		.amdhsa_memory_ordered 1
		.amdhsa_forward_progress 0
		.amdhsa_shared_vgpr_count 0
		.amdhsa_exception_fp_ieee_invalid_op 0
		.amdhsa_exception_fp_denorm_src 0
		.amdhsa_exception_fp_ieee_div_zero 0
		.amdhsa_exception_fp_ieee_overflow 0
		.amdhsa_exception_fp_ieee_underflow 0
		.amdhsa_exception_fp_ieee_inexact 0
		.amdhsa_exception_int_div_zero 0
	.end_amdhsa_kernel
	.section	.text._ZN7rocprim17ROCPRIM_400000_NS6detail17trampoline_kernelINS0_14default_configENS1_20scan_config_selectorIiEEZZNS1_9scan_implILNS1_25lookback_scan_determinismE0ELb0ELb0ES3_N6thrust23THRUST_200600_302600_NS6detail15normal_iteratorINS9_10device_ptrIiEEEESE_iNS9_4plusIvEEiEEDaPvRmT3_T4_T5_mT6_P12ihipStream_tbENKUlT_T0_E_clISt17integral_constantIbLb1EEST_IbLb0EEEEDaSP_SQ_EUlSP_E_NS1_11comp_targetILNS1_3genE9ELNS1_11target_archE1100ELNS1_3gpuE3ELNS1_3repE0EEENS1_30default_config_static_selectorELNS0_4arch9wavefront6targetE0EEEvT1_,"axG",@progbits,_ZN7rocprim17ROCPRIM_400000_NS6detail17trampoline_kernelINS0_14default_configENS1_20scan_config_selectorIiEEZZNS1_9scan_implILNS1_25lookback_scan_determinismE0ELb0ELb0ES3_N6thrust23THRUST_200600_302600_NS6detail15normal_iteratorINS9_10device_ptrIiEEEESE_iNS9_4plusIvEEiEEDaPvRmT3_T4_T5_mT6_P12ihipStream_tbENKUlT_T0_E_clISt17integral_constantIbLb1EEST_IbLb0EEEEDaSP_SQ_EUlSP_E_NS1_11comp_targetILNS1_3genE9ELNS1_11target_archE1100ELNS1_3gpuE3ELNS1_3repE0EEENS1_30default_config_static_selectorELNS0_4arch9wavefront6targetE0EEEvT1_,comdat
.Lfunc_end56:
	.size	_ZN7rocprim17ROCPRIM_400000_NS6detail17trampoline_kernelINS0_14default_configENS1_20scan_config_selectorIiEEZZNS1_9scan_implILNS1_25lookback_scan_determinismE0ELb0ELb0ES3_N6thrust23THRUST_200600_302600_NS6detail15normal_iteratorINS9_10device_ptrIiEEEESE_iNS9_4plusIvEEiEEDaPvRmT3_T4_T5_mT6_P12ihipStream_tbENKUlT_T0_E_clISt17integral_constantIbLb1EEST_IbLb0EEEEDaSP_SQ_EUlSP_E_NS1_11comp_targetILNS1_3genE9ELNS1_11target_archE1100ELNS1_3gpuE3ELNS1_3repE0EEENS1_30default_config_static_selectorELNS0_4arch9wavefront6targetE0EEEvT1_, .Lfunc_end56-_ZN7rocprim17ROCPRIM_400000_NS6detail17trampoline_kernelINS0_14default_configENS1_20scan_config_selectorIiEEZZNS1_9scan_implILNS1_25lookback_scan_determinismE0ELb0ELb0ES3_N6thrust23THRUST_200600_302600_NS6detail15normal_iteratorINS9_10device_ptrIiEEEESE_iNS9_4plusIvEEiEEDaPvRmT3_T4_T5_mT6_P12ihipStream_tbENKUlT_T0_E_clISt17integral_constantIbLb1EEST_IbLb0EEEEDaSP_SQ_EUlSP_E_NS1_11comp_targetILNS1_3genE9ELNS1_11target_archE1100ELNS1_3gpuE3ELNS1_3repE0EEENS1_30default_config_static_selectorELNS0_4arch9wavefront6targetE0EEEvT1_
                                        ; -- End function
	.section	.AMDGPU.csdata,"",@progbits
; Kernel info:
; codeLenInByte = 4148
; NumSgprs: 25
; NumVgprs: 32
; ScratchSize: 0
; MemoryBound: 0
; FloatMode: 240
; IeeeMode: 1
; LDSByteSize: 4224 bytes/workgroup (compile time only)
; SGPRBlocks: 3
; VGPRBlocks: 3
; NumSGPRsForWavesPerEU: 25
; NumVGPRsForWavesPerEU: 32
; Occupancy: 16
; WaveLimiterHint : 1
; COMPUTE_PGM_RSRC2:SCRATCH_EN: 0
; COMPUTE_PGM_RSRC2:USER_SGPR: 15
; COMPUTE_PGM_RSRC2:TRAP_HANDLER: 0
; COMPUTE_PGM_RSRC2:TGID_X_EN: 1
; COMPUTE_PGM_RSRC2:TGID_Y_EN: 0
; COMPUTE_PGM_RSRC2:TGID_Z_EN: 0
; COMPUTE_PGM_RSRC2:TIDIG_COMP_CNT: 0
	.section	.text._ZN7rocprim17ROCPRIM_400000_NS6detail17trampoline_kernelINS0_14default_configENS1_20scan_config_selectorIiEEZZNS1_9scan_implILNS1_25lookback_scan_determinismE0ELb0ELb0ES3_N6thrust23THRUST_200600_302600_NS6detail15normal_iteratorINS9_10device_ptrIiEEEESE_iNS9_4plusIvEEiEEDaPvRmT3_T4_T5_mT6_P12ihipStream_tbENKUlT_T0_E_clISt17integral_constantIbLb1EEST_IbLb0EEEEDaSP_SQ_EUlSP_E_NS1_11comp_targetILNS1_3genE8ELNS1_11target_archE1030ELNS1_3gpuE2ELNS1_3repE0EEENS1_30default_config_static_selectorELNS0_4arch9wavefront6targetE0EEEvT1_,"axG",@progbits,_ZN7rocprim17ROCPRIM_400000_NS6detail17trampoline_kernelINS0_14default_configENS1_20scan_config_selectorIiEEZZNS1_9scan_implILNS1_25lookback_scan_determinismE0ELb0ELb0ES3_N6thrust23THRUST_200600_302600_NS6detail15normal_iteratorINS9_10device_ptrIiEEEESE_iNS9_4plusIvEEiEEDaPvRmT3_T4_T5_mT6_P12ihipStream_tbENKUlT_T0_E_clISt17integral_constantIbLb1EEST_IbLb0EEEEDaSP_SQ_EUlSP_E_NS1_11comp_targetILNS1_3genE8ELNS1_11target_archE1030ELNS1_3gpuE2ELNS1_3repE0EEENS1_30default_config_static_selectorELNS0_4arch9wavefront6targetE0EEEvT1_,comdat
	.protected	_ZN7rocprim17ROCPRIM_400000_NS6detail17trampoline_kernelINS0_14default_configENS1_20scan_config_selectorIiEEZZNS1_9scan_implILNS1_25lookback_scan_determinismE0ELb0ELb0ES3_N6thrust23THRUST_200600_302600_NS6detail15normal_iteratorINS9_10device_ptrIiEEEESE_iNS9_4plusIvEEiEEDaPvRmT3_T4_T5_mT6_P12ihipStream_tbENKUlT_T0_E_clISt17integral_constantIbLb1EEST_IbLb0EEEEDaSP_SQ_EUlSP_E_NS1_11comp_targetILNS1_3genE8ELNS1_11target_archE1030ELNS1_3gpuE2ELNS1_3repE0EEENS1_30default_config_static_selectorELNS0_4arch9wavefront6targetE0EEEvT1_ ; -- Begin function _ZN7rocprim17ROCPRIM_400000_NS6detail17trampoline_kernelINS0_14default_configENS1_20scan_config_selectorIiEEZZNS1_9scan_implILNS1_25lookback_scan_determinismE0ELb0ELb0ES3_N6thrust23THRUST_200600_302600_NS6detail15normal_iteratorINS9_10device_ptrIiEEEESE_iNS9_4plusIvEEiEEDaPvRmT3_T4_T5_mT6_P12ihipStream_tbENKUlT_T0_E_clISt17integral_constantIbLb1EEST_IbLb0EEEEDaSP_SQ_EUlSP_E_NS1_11comp_targetILNS1_3genE8ELNS1_11target_archE1030ELNS1_3gpuE2ELNS1_3repE0EEENS1_30default_config_static_selectorELNS0_4arch9wavefront6targetE0EEEvT1_
	.globl	_ZN7rocprim17ROCPRIM_400000_NS6detail17trampoline_kernelINS0_14default_configENS1_20scan_config_selectorIiEEZZNS1_9scan_implILNS1_25lookback_scan_determinismE0ELb0ELb0ES3_N6thrust23THRUST_200600_302600_NS6detail15normal_iteratorINS9_10device_ptrIiEEEESE_iNS9_4plusIvEEiEEDaPvRmT3_T4_T5_mT6_P12ihipStream_tbENKUlT_T0_E_clISt17integral_constantIbLb1EEST_IbLb0EEEEDaSP_SQ_EUlSP_E_NS1_11comp_targetILNS1_3genE8ELNS1_11target_archE1030ELNS1_3gpuE2ELNS1_3repE0EEENS1_30default_config_static_selectorELNS0_4arch9wavefront6targetE0EEEvT1_
	.p2align	8
	.type	_ZN7rocprim17ROCPRIM_400000_NS6detail17trampoline_kernelINS0_14default_configENS1_20scan_config_selectorIiEEZZNS1_9scan_implILNS1_25lookback_scan_determinismE0ELb0ELb0ES3_N6thrust23THRUST_200600_302600_NS6detail15normal_iteratorINS9_10device_ptrIiEEEESE_iNS9_4plusIvEEiEEDaPvRmT3_T4_T5_mT6_P12ihipStream_tbENKUlT_T0_E_clISt17integral_constantIbLb1EEST_IbLb0EEEEDaSP_SQ_EUlSP_E_NS1_11comp_targetILNS1_3genE8ELNS1_11target_archE1030ELNS1_3gpuE2ELNS1_3repE0EEENS1_30default_config_static_selectorELNS0_4arch9wavefront6targetE0EEEvT1_,@function
_ZN7rocprim17ROCPRIM_400000_NS6detail17trampoline_kernelINS0_14default_configENS1_20scan_config_selectorIiEEZZNS1_9scan_implILNS1_25lookback_scan_determinismE0ELb0ELb0ES3_N6thrust23THRUST_200600_302600_NS6detail15normal_iteratorINS9_10device_ptrIiEEEESE_iNS9_4plusIvEEiEEDaPvRmT3_T4_T5_mT6_P12ihipStream_tbENKUlT_T0_E_clISt17integral_constantIbLb1EEST_IbLb0EEEEDaSP_SQ_EUlSP_E_NS1_11comp_targetILNS1_3genE8ELNS1_11target_archE1030ELNS1_3gpuE2ELNS1_3repE0EEENS1_30default_config_static_selectorELNS0_4arch9wavefront6targetE0EEEvT1_: ; @_ZN7rocprim17ROCPRIM_400000_NS6detail17trampoline_kernelINS0_14default_configENS1_20scan_config_selectorIiEEZZNS1_9scan_implILNS1_25lookback_scan_determinismE0ELb0ELb0ES3_N6thrust23THRUST_200600_302600_NS6detail15normal_iteratorINS9_10device_ptrIiEEEESE_iNS9_4plusIvEEiEEDaPvRmT3_T4_T5_mT6_P12ihipStream_tbENKUlT_T0_E_clISt17integral_constantIbLb1EEST_IbLb0EEEEDaSP_SQ_EUlSP_E_NS1_11comp_targetILNS1_3genE8ELNS1_11target_archE1030ELNS1_3gpuE2ELNS1_3repE0EEENS1_30default_config_static_selectorELNS0_4arch9wavefront6targetE0EEEvT1_
; %bb.0:
	.section	.rodata,"a",@progbits
	.p2align	6, 0x0
	.amdhsa_kernel _ZN7rocprim17ROCPRIM_400000_NS6detail17trampoline_kernelINS0_14default_configENS1_20scan_config_selectorIiEEZZNS1_9scan_implILNS1_25lookback_scan_determinismE0ELb0ELb0ES3_N6thrust23THRUST_200600_302600_NS6detail15normal_iteratorINS9_10device_ptrIiEEEESE_iNS9_4plusIvEEiEEDaPvRmT3_T4_T5_mT6_P12ihipStream_tbENKUlT_T0_E_clISt17integral_constantIbLb1EEST_IbLb0EEEEDaSP_SQ_EUlSP_E_NS1_11comp_targetILNS1_3genE8ELNS1_11target_archE1030ELNS1_3gpuE2ELNS1_3repE0EEENS1_30default_config_static_selectorELNS0_4arch9wavefront6targetE0EEEvT1_
		.amdhsa_group_segment_fixed_size 0
		.amdhsa_private_segment_fixed_size 0
		.amdhsa_kernarg_size 96
		.amdhsa_user_sgpr_count 15
		.amdhsa_user_sgpr_dispatch_ptr 0
		.amdhsa_user_sgpr_queue_ptr 0
		.amdhsa_user_sgpr_kernarg_segment_ptr 1
		.amdhsa_user_sgpr_dispatch_id 0
		.amdhsa_user_sgpr_private_segment_size 0
		.amdhsa_wavefront_size32 1
		.amdhsa_uses_dynamic_stack 0
		.amdhsa_enable_private_segment 0
		.amdhsa_system_sgpr_workgroup_id_x 1
		.amdhsa_system_sgpr_workgroup_id_y 0
		.amdhsa_system_sgpr_workgroup_id_z 0
		.amdhsa_system_sgpr_workgroup_info 0
		.amdhsa_system_vgpr_workitem_id 0
		.amdhsa_next_free_vgpr 1
		.amdhsa_next_free_sgpr 1
		.amdhsa_reserve_vcc 0
		.amdhsa_float_round_mode_32 0
		.amdhsa_float_round_mode_16_64 0
		.amdhsa_float_denorm_mode_32 3
		.amdhsa_float_denorm_mode_16_64 3
		.amdhsa_dx10_clamp 1
		.amdhsa_ieee_mode 1
		.amdhsa_fp16_overflow 0
		.amdhsa_workgroup_processor_mode 1
		.amdhsa_memory_ordered 1
		.amdhsa_forward_progress 0
		.amdhsa_shared_vgpr_count 0
		.amdhsa_exception_fp_ieee_invalid_op 0
		.amdhsa_exception_fp_denorm_src 0
		.amdhsa_exception_fp_ieee_div_zero 0
		.amdhsa_exception_fp_ieee_overflow 0
		.amdhsa_exception_fp_ieee_underflow 0
		.amdhsa_exception_fp_ieee_inexact 0
		.amdhsa_exception_int_div_zero 0
	.end_amdhsa_kernel
	.section	.text._ZN7rocprim17ROCPRIM_400000_NS6detail17trampoline_kernelINS0_14default_configENS1_20scan_config_selectorIiEEZZNS1_9scan_implILNS1_25lookback_scan_determinismE0ELb0ELb0ES3_N6thrust23THRUST_200600_302600_NS6detail15normal_iteratorINS9_10device_ptrIiEEEESE_iNS9_4plusIvEEiEEDaPvRmT3_T4_T5_mT6_P12ihipStream_tbENKUlT_T0_E_clISt17integral_constantIbLb1EEST_IbLb0EEEEDaSP_SQ_EUlSP_E_NS1_11comp_targetILNS1_3genE8ELNS1_11target_archE1030ELNS1_3gpuE2ELNS1_3repE0EEENS1_30default_config_static_selectorELNS0_4arch9wavefront6targetE0EEEvT1_,"axG",@progbits,_ZN7rocprim17ROCPRIM_400000_NS6detail17trampoline_kernelINS0_14default_configENS1_20scan_config_selectorIiEEZZNS1_9scan_implILNS1_25lookback_scan_determinismE0ELb0ELb0ES3_N6thrust23THRUST_200600_302600_NS6detail15normal_iteratorINS9_10device_ptrIiEEEESE_iNS9_4plusIvEEiEEDaPvRmT3_T4_T5_mT6_P12ihipStream_tbENKUlT_T0_E_clISt17integral_constantIbLb1EEST_IbLb0EEEEDaSP_SQ_EUlSP_E_NS1_11comp_targetILNS1_3genE8ELNS1_11target_archE1030ELNS1_3gpuE2ELNS1_3repE0EEENS1_30default_config_static_selectorELNS0_4arch9wavefront6targetE0EEEvT1_,comdat
.Lfunc_end57:
	.size	_ZN7rocprim17ROCPRIM_400000_NS6detail17trampoline_kernelINS0_14default_configENS1_20scan_config_selectorIiEEZZNS1_9scan_implILNS1_25lookback_scan_determinismE0ELb0ELb0ES3_N6thrust23THRUST_200600_302600_NS6detail15normal_iteratorINS9_10device_ptrIiEEEESE_iNS9_4plusIvEEiEEDaPvRmT3_T4_T5_mT6_P12ihipStream_tbENKUlT_T0_E_clISt17integral_constantIbLb1EEST_IbLb0EEEEDaSP_SQ_EUlSP_E_NS1_11comp_targetILNS1_3genE8ELNS1_11target_archE1030ELNS1_3gpuE2ELNS1_3repE0EEENS1_30default_config_static_selectorELNS0_4arch9wavefront6targetE0EEEvT1_, .Lfunc_end57-_ZN7rocprim17ROCPRIM_400000_NS6detail17trampoline_kernelINS0_14default_configENS1_20scan_config_selectorIiEEZZNS1_9scan_implILNS1_25lookback_scan_determinismE0ELb0ELb0ES3_N6thrust23THRUST_200600_302600_NS6detail15normal_iteratorINS9_10device_ptrIiEEEESE_iNS9_4plusIvEEiEEDaPvRmT3_T4_T5_mT6_P12ihipStream_tbENKUlT_T0_E_clISt17integral_constantIbLb1EEST_IbLb0EEEEDaSP_SQ_EUlSP_E_NS1_11comp_targetILNS1_3genE8ELNS1_11target_archE1030ELNS1_3gpuE2ELNS1_3repE0EEENS1_30default_config_static_selectorELNS0_4arch9wavefront6targetE0EEEvT1_
                                        ; -- End function
	.section	.AMDGPU.csdata,"",@progbits
; Kernel info:
; codeLenInByte = 0
; NumSgprs: 0
; NumVgprs: 0
; ScratchSize: 0
; MemoryBound: 0
; FloatMode: 240
; IeeeMode: 1
; LDSByteSize: 0 bytes/workgroup (compile time only)
; SGPRBlocks: 0
; VGPRBlocks: 0
; NumSGPRsForWavesPerEU: 1
; NumVGPRsForWavesPerEU: 1
; Occupancy: 16
; WaveLimiterHint : 0
; COMPUTE_PGM_RSRC2:SCRATCH_EN: 0
; COMPUTE_PGM_RSRC2:USER_SGPR: 15
; COMPUTE_PGM_RSRC2:TRAP_HANDLER: 0
; COMPUTE_PGM_RSRC2:TGID_X_EN: 1
; COMPUTE_PGM_RSRC2:TGID_Y_EN: 0
; COMPUTE_PGM_RSRC2:TGID_Z_EN: 0
; COMPUTE_PGM_RSRC2:TIDIG_COMP_CNT: 0
	.section	.text._ZN7rocprim17ROCPRIM_400000_NS6detail17trampoline_kernelINS0_14default_configENS1_20scan_config_selectorIiEEZZNS1_9scan_implILNS1_25lookback_scan_determinismE0ELb0ELb0ES3_N6thrust23THRUST_200600_302600_NS6detail15normal_iteratorINS9_10device_ptrIiEEEESE_iNS9_4plusIvEEiEEDaPvRmT3_T4_T5_mT6_P12ihipStream_tbENKUlT_T0_E_clISt17integral_constantIbLb1EEST_IbLb0EEEEDaSP_SQ_EUlSP_E0_NS1_11comp_targetILNS1_3genE0ELNS1_11target_archE4294967295ELNS1_3gpuE0ELNS1_3repE0EEENS1_30default_config_static_selectorELNS0_4arch9wavefront6targetE0EEEvT1_,"axG",@progbits,_ZN7rocprim17ROCPRIM_400000_NS6detail17trampoline_kernelINS0_14default_configENS1_20scan_config_selectorIiEEZZNS1_9scan_implILNS1_25lookback_scan_determinismE0ELb0ELb0ES3_N6thrust23THRUST_200600_302600_NS6detail15normal_iteratorINS9_10device_ptrIiEEEESE_iNS9_4plusIvEEiEEDaPvRmT3_T4_T5_mT6_P12ihipStream_tbENKUlT_T0_E_clISt17integral_constantIbLb1EEST_IbLb0EEEEDaSP_SQ_EUlSP_E0_NS1_11comp_targetILNS1_3genE0ELNS1_11target_archE4294967295ELNS1_3gpuE0ELNS1_3repE0EEENS1_30default_config_static_selectorELNS0_4arch9wavefront6targetE0EEEvT1_,comdat
	.protected	_ZN7rocprim17ROCPRIM_400000_NS6detail17trampoline_kernelINS0_14default_configENS1_20scan_config_selectorIiEEZZNS1_9scan_implILNS1_25lookback_scan_determinismE0ELb0ELb0ES3_N6thrust23THRUST_200600_302600_NS6detail15normal_iteratorINS9_10device_ptrIiEEEESE_iNS9_4plusIvEEiEEDaPvRmT3_T4_T5_mT6_P12ihipStream_tbENKUlT_T0_E_clISt17integral_constantIbLb1EEST_IbLb0EEEEDaSP_SQ_EUlSP_E0_NS1_11comp_targetILNS1_3genE0ELNS1_11target_archE4294967295ELNS1_3gpuE0ELNS1_3repE0EEENS1_30default_config_static_selectorELNS0_4arch9wavefront6targetE0EEEvT1_ ; -- Begin function _ZN7rocprim17ROCPRIM_400000_NS6detail17trampoline_kernelINS0_14default_configENS1_20scan_config_selectorIiEEZZNS1_9scan_implILNS1_25lookback_scan_determinismE0ELb0ELb0ES3_N6thrust23THRUST_200600_302600_NS6detail15normal_iteratorINS9_10device_ptrIiEEEESE_iNS9_4plusIvEEiEEDaPvRmT3_T4_T5_mT6_P12ihipStream_tbENKUlT_T0_E_clISt17integral_constantIbLb1EEST_IbLb0EEEEDaSP_SQ_EUlSP_E0_NS1_11comp_targetILNS1_3genE0ELNS1_11target_archE4294967295ELNS1_3gpuE0ELNS1_3repE0EEENS1_30default_config_static_selectorELNS0_4arch9wavefront6targetE0EEEvT1_
	.globl	_ZN7rocprim17ROCPRIM_400000_NS6detail17trampoline_kernelINS0_14default_configENS1_20scan_config_selectorIiEEZZNS1_9scan_implILNS1_25lookback_scan_determinismE0ELb0ELb0ES3_N6thrust23THRUST_200600_302600_NS6detail15normal_iteratorINS9_10device_ptrIiEEEESE_iNS9_4plusIvEEiEEDaPvRmT3_T4_T5_mT6_P12ihipStream_tbENKUlT_T0_E_clISt17integral_constantIbLb1EEST_IbLb0EEEEDaSP_SQ_EUlSP_E0_NS1_11comp_targetILNS1_3genE0ELNS1_11target_archE4294967295ELNS1_3gpuE0ELNS1_3repE0EEENS1_30default_config_static_selectorELNS0_4arch9wavefront6targetE0EEEvT1_
	.p2align	8
	.type	_ZN7rocprim17ROCPRIM_400000_NS6detail17trampoline_kernelINS0_14default_configENS1_20scan_config_selectorIiEEZZNS1_9scan_implILNS1_25lookback_scan_determinismE0ELb0ELb0ES3_N6thrust23THRUST_200600_302600_NS6detail15normal_iteratorINS9_10device_ptrIiEEEESE_iNS9_4plusIvEEiEEDaPvRmT3_T4_T5_mT6_P12ihipStream_tbENKUlT_T0_E_clISt17integral_constantIbLb1EEST_IbLb0EEEEDaSP_SQ_EUlSP_E0_NS1_11comp_targetILNS1_3genE0ELNS1_11target_archE4294967295ELNS1_3gpuE0ELNS1_3repE0EEENS1_30default_config_static_selectorELNS0_4arch9wavefront6targetE0EEEvT1_,@function
_ZN7rocprim17ROCPRIM_400000_NS6detail17trampoline_kernelINS0_14default_configENS1_20scan_config_selectorIiEEZZNS1_9scan_implILNS1_25lookback_scan_determinismE0ELb0ELb0ES3_N6thrust23THRUST_200600_302600_NS6detail15normal_iteratorINS9_10device_ptrIiEEEESE_iNS9_4plusIvEEiEEDaPvRmT3_T4_T5_mT6_P12ihipStream_tbENKUlT_T0_E_clISt17integral_constantIbLb1EEST_IbLb0EEEEDaSP_SQ_EUlSP_E0_NS1_11comp_targetILNS1_3genE0ELNS1_11target_archE4294967295ELNS1_3gpuE0ELNS1_3repE0EEENS1_30default_config_static_selectorELNS0_4arch9wavefront6targetE0EEEvT1_: ; @_ZN7rocprim17ROCPRIM_400000_NS6detail17trampoline_kernelINS0_14default_configENS1_20scan_config_selectorIiEEZZNS1_9scan_implILNS1_25lookback_scan_determinismE0ELb0ELb0ES3_N6thrust23THRUST_200600_302600_NS6detail15normal_iteratorINS9_10device_ptrIiEEEESE_iNS9_4plusIvEEiEEDaPvRmT3_T4_T5_mT6_P12ihipStream_tbENKUlT_T0_E_clISt17integral_constantIbLb1EEST_IbLb0EEEEDaSP_SQ_EUlSP_E0_NS1_11comp_targetILNS1_3genE0ELNS1_11target_archE4294967295ELNS1_3gpuE0ELNS1_3repE0EEENS1_30default_config_static_selectorELNS0_4arch9wavefront6targetE0EEEvT1_
; %bb.0:
	.section	.rodata,"a",@progbits
	.p2align	6, 0x0
	.amdhsa_kernel _ZN7rocprim17ROCPRIM_400000_NS6detail17trampoline_kernelINS0_14default_configENS1_20scan_config_selectorIiEEZZNS1_9scan_implILNS1_25lookback_scan_determinismE0ELb0ELb0ES3_N6thrust23THRUST_200600_302600_NS6detail15normal_iteratorINS9_10device_ptrIiEEEESE_iNS9_4plusIvEEiEEDaPvRmT3_T4_T5_mT6_P12ihipStream_tbENKUlT_T0_E_clISt17integral_constantIbLb1EEST_IbLb0EEEEDaSP_SQ_EUlSP_E0_NS1_11comp_targetILNS1_3genE0ELNS1_11target_archE4294967295ELNS1_3gpuE0ELNS1_3repE0EEENS1_30default_config_static_selectorELNS0_4arch9wavefront6targetE0EEEvT1_
		.amdhsa_group_segment_fixed_size 0
		.amdhsa_private_segment_fixed_size 0
		.amdhsa_kernarg_size 32
		.amdhsa_user_sgpr_count 15
		.amdhsa_user_sgpr_dispatch_ptr 0
		.amdhsa_user_sgpr_queue_ptr 0
		.amdhsa_user_sgpr_kernarg_segment_ptr 1
		.amdhsa_user_sgpr_dispatch_id 0
		.amdhsa_user_sgpr_private_segment_size 0
		.amdhsa_wavefront_size32 1
		.amdhsa_uses_dynamic_stack 0
		.amdhsa_enable_private_segment 0
		.amdhsa_system_sgpr_workgroup_id_x 1
		.amdhsa_system_sgpr_workgroup_id_y 0
		.amdhsa_system_sgpr_workgroup_id_z 0
		.amdhsa_system_sgpr_workgroup_info 0
		.amdhsa_system_vgpr_workitem_id 0
		.amdhsa_next_free_vgpr 1
		.amdhsa_next_free_sgpr 1
		.amdhsa_reserve_vcc 0
		.amdhsa_float_round_mode_32 0
		.amdhsa_float_round_mode_16_64 0
		.amdhsa_float_denorm_mode_32 3
		.amdhsa_float_denorm_mode_16_64 3
		.amdhsa_dx10_clamp 1
		.amdhsa_ieee_mode 1
		.amdhsa_fp16_overflow 0
		.amdhsa_workgroup_processor_mode 1
		.amdhsa_memory_ordered 1
		.amdhsa_forward_progress 0
		.amdhsa_shared_vgpr_count 0
		.amdhsa_exception_fp_ieee_invalid_op 0
		.amdhsa_exception_fp_denorm_src 0
		.amdhsa_exception_fp_ieee_div_zero 0
		.amdhsa_exception_fp_ieee_overflow 0
		.amdhsa_exception_fp_ieee_underflow 0
		.amdhsa_exception_fp_ieee_inexact 0
		.amdhsa_exception_int_div_zero 0
	.end_amdhsa_kernel
	.section	.text._ZN7rocprim17ROCPRIM_400000_NS6detail17trampoline_kernelINS0_14default_configENS1_20scan_config_selectorIiEEZZNS1_9scan_implILNS1_25lookback_scan_determinismE0ELb0ELb0ES3_N6thrust23THRUST_200600_302600_NS6detail15normal_iteratorINS9_10device_ptrIiEEEESE_iNS9_4plusIvEEiEEDaPvRmT3_T4_T5_mT6_P12ihipStream_tbENKUlT_T0_E_clISt17integral_constantIbLb1EEST_IbLb0EEEEDaSP_SQ_EUlSP_E0_NS1_11comp_targetILNS1_3genE0ELNS1_11target_archE4294967295ELNS1_3gpuE0ELNS1_3repE0EEENS1_30default_config_static_selectorELNS0_4arch9wavefront6targetE0EEEvT1_,"axG",@progbits,_ZN7rocprim17ROCPRIM_400000_NS6detail17trampoline_kernelINS0_14default_configENS1_20scan_config_selectorIiEEZZNS1_9scan_implILNS1_25lookback_scan_determinismE0ELb0ELb0ES3_N6thrust23THRUST_200600_302600_NS6detail15normal_iteratorINS9_10device_ptrIiEEEESE_iNS9_4plusIvEEiEEDaPvRmT3_T4_T5_mT6_P12ihipStream_tbENKUlT_T0_E_clISt17integral_constantIbLb1EEST_IbLb0EEEEDaSP_SQ_EUlSP_E0_NS1_11comp_targetILNS1_3genE0ELNS1_11target_archE4294967295ELNS1_3gpuE0ELNS1_3repE0EEENS1_30default_config_static_selectorELNS0_4arch9wavefront6targetE0EEEvT1_,comdat
.Lfunc_end58:
	.size	_ZN7rocprim17ROCPRIM_400000_NS6detail17trampoline_kernelINS0_14default_configENS1_20scan_config_selectorIiEEZZNS1_9scan_implILNS1_25lookback_scan_determinismE0ELb0ELb0ES3_N6thrust23THRUST_200600_302600_NS6detail15normal_iteratorINS9_10device_ptrIiEEEESE_iNS9_4plusIvEEiEEDaPvRmT3_T4_T5_mT6_P12ihipStream_tbENKUlT_T0_E_clISt17integral_constantIbLb1EEST_IbLb0EEEEDaSP_SQ_EUlSP_E0_NS1_11comp_targetILNS1_3genE0ELNS1_11target_archE4294967295ELNS1_3gpuE0ELNS1_3repE0EEENS1_30default_config_static_selectorELNS0_4arch9wavefront6targetE0EEEvT1_, .Lfunc_end58-_ZN7rocprim17ROCPRIM_400000_NS6detail17trampoline_kernelINS0_14default_configENS1_20scan_config_selectorIiEEZZNS1_9scan_implILNS1_25lookback_scan_determinismE0ELb0ELb0ES3_N6thrust23THRUST_200600_302600_NS6detail15normal_iteratorINS9_10device_ptrIiEEEESE_iNS9_4plusIvEEiEEDaPvRmT3_T4_T5_mT6_P12ihipStream_tbENKUlT_T0_E_clISt17integral_constantIbLb1EEST_IbLb0EEEEDaSP_SQ_EUlSP_E0_NS1_11comp_targetILNS1_3genE0ELNS1_11target_archE4294967295ELNS1_3gpuE0ELNS1_3repE0EEENS1_30default_config_static_selectorELNS0_4arch9wavefront6targetE0EEEvT1_
                                        ; -- End function
	.section	.AMDGPU.csdata,"",@progbits
; Kernel info:
; codeLenInByte = 0
; NumSgprs: 0
; NumVgprs: 0
; ScratchSize: 0
; MemoryBound: 0
; FloatMode: 240
; IeeeMode: 1
; LDSByteSize: 0 bytes/workgroup (compile time only)
; SGPRBlocks: 0
; VGPRBlocks: 0
; NumSGPRsForWavesPerEU: 1
; NumVGPRsForWavesPerEU: 1
; Occupancy: 16
; WaveLimiterHint : 0
; COMPUTE_PGM_RSRC2:SCRATCH_EN: 0
; COMPUTE_PGM_RSRC2:USER_SGPR: 15
; COMPUTE_PGM_RSRC2:TRAP_HANDLER: 0
; COMPUTE_PGM_RSRC2:TGID_X_EN: 1
; COMPUTE_PGM_RSRC2:TGID_Y_EN: 0
; COMPUTE_PGM_RSRC2:TGID_Z_EN: 0
; COMPUTE_PGM_RSRC2:TIDIG_COMP_CNT: 0
	.section	.text._ZN7rocprim17ROCPRIM_400000_NS6detail17trampoline_kernelINS0_14default_configENS1_20scan_config_selectorIiEEZZNS1_9scan_implILNS1_25lookback_scan_determinismE0ELb0ELb0ES3_N6thrust23THRUST_200600_302600_NS6detail15normal_iteratorINS9_10device_ptrIiEEEESE_iNS9_4plusIvEEiEEDaPvRmT3_T4_T5_mT6_P12ihipStream_tbENKUlT_T0_E_clISt17integral_constantIbLb1EEST_IbLb0EEEEDaSP_SQ_EUlSP_E0_NS1_11comp_targetILNS1_3genE5ELNS1_11target_archE942ELNS1_3gpuE9ELNS1_3repE0EEENS1_30default_config_static_selectorELNS0_4arch9wavefront6targetE0EEEvT1_,"axG",@progbits,_ZN7rocprim17ROCPRIM_400000_NS6detail17trampoline_kernelINS0_14default_configENS1_20scan_config_selectorIiEEZZNS1_9scan_implILNS1_25lookback_scan_determinismE0ELb0ELb0ES3_N6thrust23THRUST_200600_302600_NS6detail15normal_iteratorINS9_10device_ptrIiEEEESE_iNS9_4plusIvEEiEEDaPvRmT3_T4_T5_mT6_P12ihipStream_tbENKUlT_T0_E_clISt17integral_constantIbLb1EEST_IbLb0EEEEDaSP_SQ_EUlSP_E0_NS1_11comp_targetILNS1_3genE5ELNS1_11target_archE942ELNS1_3gpuE9ELNS1_3repE0EEENS1_30default_config_static_selectorELNS0_4arch9wavefront6targetE0EEEvT1_,comdat
	.protected	_ZN7rocprim17ROCPRIM_400000_NS6detail17trampoline_kernelINS0_14default_configENS1_20scan_config_selectorIiEEZZNS1_9scan_implILNS1_25lookback_scan_determinismE0ELb0ELb0ES3_N6thrust23THRUST_200600_302600_NS6detail15normal_iteratorINS9_10device_ptrIiEEEESE_iNS9_4plusIvEEiEEDaPvRmT3_T4_T5_mT6_P12ihipStream_tbENKUlT_T0_E_clISt17integral_constantIbLb1EEST_IbLb0EEEEDaSP_SQ_EUlSP_E0_NS1_11comp_targetILNS1_3genE5ELNS1_11target_archE942ELNS1_3gpuE9ELNS1_3repE0EEENS1_30default_config_static_selectorELNS0_4arch9wavefront6targetE0EEEvT1_ ; -- Begin function _ZN7rocprim17ROCPRIM_400000_NS6detail17trampoline_kernelINS0_14default_configENS1_20scan_config_selectorIiEEZZNS1_9scan_implILNS1_25lookback_scan_determinismE0ELb0ELb0ES3_N6thrust23THRUST_200600_302600_NS6detail15normal_iteratorINS9_10device_ptrIiEEEESE_iNS9_4plusIvEEiEEDaPvRmT3_T4_T5_mT6_P12ihipStream_tbENKUlT_T0_E_clISt17integral_constantIbLb1EEST_IbLb0EEEEDaSP_SQ_EUlSP_E0_NS1_11comp_targetILNS1_3genE5ELNS1_11target_archE942ELNS1_3gpuE9ELNS1_3repE0EEENS1_30default_config_static_selectorELNS0_4arch9wavefront6targetE0EEEvT1_
	.globl	_ZN7rocprim17ROCPRIM_400000_NS6detail17trampoline_kernelINS0_14default_configENS1_20scan_config_selectorIiEEZZNS1_9scan_implILNS1_25lookback_scan_determinismE0ELb0ELb0ES3_N6thrust23THRUST_200600_302600_NS6detail15normal_iteratorINS9_10device_ptrIiEEEESE_iNS9_4plusIvEEiEEDaPvRmT3_T4_T5_mT6_P12ihipStream_tbENKUlT_T0_E_clISt17integral_constantIbLb1EEST_IbLb0EEEEDaSP_SQ_EUlSP_E0_NS1_11comp_targetILNS1_3genE5ELNS1_11target_archE942ELNS1_3gpuE9ELNS1_3repE0EEENS1_30default_config_static_selectorELNS0_4arch9wavefront6targetE0EEEvT1_
	.p2align	8
	.type	_ZN7rocprim17ROCPRIM_400000_NS6detail17trampoline_kernelINS0_14default_configENS1_20scan_config_selectorIiEEZZNS1_9scan_implILNS1_25lookback_scan_determinismE0ELb0ELb0ES3_N6thrust23THRUST_200600_302600_NS6detail15normal_iteratorINS9_10device_ptrIiEEEESE_iNS9_4plusIvEEiEEDaPvRmT3_T4_T5_mT6_P12ihipStream_tbENKUlT_T0_E_clISt17integral_constantIbLb1EEST_IbLb0EEEEDaSP_SQ_EUlSP_E0_NS1_11comp_targetILNS1_3genE5ELNS1_11target_archE942ELNS1_3gpuE9ELNS1_3repE0EEENS1_30default_config_static_selectorELNS0_4arch9wavefront6targetE0EEEvT1_,@function
_ZN7rocprim17ROCPRIM_400000_NS6detail17trampoline_kernelINS0_14default_configENS1_20scan_config_selectorIiEEZZNS1_9scan_implILNS1_25lookback_scan_determinismE0ELb0ELb0ES3_N6thrust23THRUST_200600_302600_NS6detail15normal_iteratorINS9_10device_ptrIiEEEESE_iNS9_4plusIvEEiEEDaPvRmT3_T4_T5_mT6_P12ihipStream_tbENKUlT_T0_E_clISt17integral_constantIbLb1EEST_IbLb0EEEEDaSP_SQ_EUlSP_E0_NS1_11comp_targetILNS1_3genE5ELNS1_11target_archE942ELNS1_3gpuE9ELNS1_3repE0EEENS1_30default_config_static_selectorELNS0_4arch9wavefront6targetE0EEEvT1_: ; @_ZN7rocprim17ROCPRIM_400000_NS6detail17trampoline_kernelINS0_14default_configENS1_20scan_config_selectorIiEEZZNS1_9scan_implILNS1_25lookback_scan_determinismE0ELb0ELb0ES3_N6thrust23THRUST_200600_302600_NS6detail15normal_iteratorINS9_10device_ptrIiEEEESE_iNS9_4plusIvEEiEEDaPvRmT3_T4_T5_mT6_P12ihipStream_tbENKUlT_T0_E_clISt17integral_constantIbLb1EEST_IbLb0EEEEDaSP_SQ_EUlSP_E0_NS1_11comp_targetILNS1_3genE5ELNS1_11target_archE942ELNS1_3gpuE9ELNS1_3repE0EEENS1_30default_config_static_selectorELNS0_4arch9wavefront6targetE0EEEvT1_
; %bb.0:
	.section	.rodata,"a",@progbits
	.p2align	6, 0x0
	.amdhsa_kernel _ZN7rocprim17ROCPRIM_400000_NS6detail17trampoline_kernelINS0_14default_configENS1_20scan_config_selectorIiEEZZNS1_9scan_implILNS1_25lookback_scan_determinismE0ELb0ELb0ES3_N6thrust23THRUST_200600_302600_NS6detail15normal_iteratorINS9_10device_ptrIiEEEESE_iNS9_4plusIvEEiEEDaPvRmT3_T4_T5_mT6_P12ihipStream_tbENKUlT_T0_E_clISt17integral_constantIbLb1EEST_IbLb0EEEEDaSP_SQ_EUlSP_E0_NS1_11comp_targetILNS1_3genE5ELNS1_11target_archE942ELNS1_3gpuE9ELNS1_3repE0EEENS1_30default_config_static_selectorELNS0_4arch9wavefront6targetE0EEEvT1_
		.amdhsa_group_segment_fixed_size 0
		.amdhsa_private_segment_fixed_size 0
		.amdhsa_kernarg_size 32
		.amdhsa_user_sgpr_count 15
		.amdhsa_user_sgpr_dispatch_ptr 0
		.amdhsa_user_sgpr_queue_ptr 0
		.amdhsa_user_sgpr_kernarg_segment_ptr 1
		.amdhsa_user_sgpr_dispatch_id 0
		.amdhsa_user_sgpr_private_segment_size 0
		.amdhsa_wavefront_size32 1
		.amdhsa_uses_dynamic_stack 0
		.amdhsa_enable_private_segment 0
		.amdhsa_system_sgpr_workgroup_id_x 1
		.amdhsa_system_sgpr_workgroup_id_y 0
		.amdhsa_system_sgpr_workgroup_id_z 0
		.amdhsa_system_sgpr_workgroup_info 0
		.amdhsa_system_vgpr_workitem_id 0
		.amdhsa_next_free_vgpr 1
		.amdhsa_next_free_sgpr 1
		.amdhsa_reserve_vcc 0
		.amdhsa_float_round_mode_32 0
		.amdhsa_float_round_mode_16_64 0
		.amdhsa_float_denorm_mode_32 3
		.amdhsa_float_denorm_mode_16_64 3
		.amdhsa_dx10_clamp 1
		.amdhsa_ieee_mode 1
		.amdhsa_fp16_overflow 0
		.amdhsa_workgroup_processor_mode 1
		.amdhsa_memory_ordered 1
		.amdhsa_forward_progress 0
		.amdhsa_shared_vgpr_count 0
		.amdhsa_exception_fp_ieee_invalid_op 0
		.amdhsa_exception_fp_denorm_src 0
		.amdhsa_exception_fp_ieee_div_zero 0
		.amdhsa_exception_fp_ieee_overflow 0
		.amdhsa_exception_fp_ieee_underflow 0
		.amdhsa_exception_fp_ieee_inexact 0
		.amdhsa_exception_int_div_zero 0
	.end_amdhsa_kernel
	.section	.text._ZN7rocprim17ROCPRIM_400000_NS6detail17trampoline_kernelINS0_14default_configENS1_20scan_config_selectorIiEEZZNS1_9scan_implILNS1_25lookback_scan_determinismE0ELb0ELb0ES3_N6thrust23THRUST_200600_302600_NS6detail15normal_iteratorINS9_10device_ptrIiEEEESE_iNS9_4plusIvEEiEEDaPvRmT3_T4_T5_mT6_P12ihipStream_tbENKUlT_T0_E_clISt17integral_constantIbLb1EEST_IbLb0EEEEDaSP_SQ_EUlSP_E0_NS1_11comp_targetILNS1_3genE5ELNS1_11target_archE942ELNS1_3gpuE9ELNS1_3repE0EEENS1_30default_config_static_selectorELNS0_4arch9wavefront6targetE0EEEvT1_,"axG",@progbits,_ZN7rocprim17ROCPRIM_400000_NS6detail17trampoline_kernelINS0_14default_configENS1_20scan_config_selectorIiEEZZNS1_9scan_implILNS1_25lookback_scan_determinismE0ELb0ELb0ES3_N6thrust23THRUST_200600_302600_NS6detail15normal_iteratorINS9_10device_ptrIiEEEESE_iNS9_4plusIvEEiEEDaPvRmT3_T4_T5_mT6_P12ihipStream_tbENKUlT_T0_E_clISt17integral_constantIbLb1EEST_IbLb0EEEEDaSP_SQ_EUlSP_E0_NS1_11comp_targetILNS1_3genE5ELNS1_11target_archE942ELNS1_3gpuE9ELNS1_3repE0EEENS1_30default_config_static_selectorELNS0_4arch9wavefront6targetE0EEEvT1_,comdat
.Lfunc_end59:
	.size	_ZN7rocprim17ROCPRIM_400000_NS6detail17trampoline_kernelINS0_14default_configENS1_20scan_config_selectorIiEEZZNS1_9scan_implILNS1_25lookback_scan_determinismE0ELb0ELb0ES3_N6thrust23THRUST_200600_302600_NS6detail15normal_iteratorINS9_10device_ptrIiEEEESE_iNS9_4plusIvEEiEEDaPvRmT3_T4_T5_mT6_P12ihipStream_tbENKUlT_T0_E_clISt17integral_constantIbLb1EEST_IbLb0EEEEDaSP_SQ_EUlSP_E0_NS1_11comp_targetILNS1_3genE5ELNS1_11target_archE942ELNS1_3gpuE9ELNS1_3repE0EEENS1_30default_config_static_selectorELNS0_4arch9wavefront6targetE0EEEvT1_, .Lfunc_end59-_ZN7rocprim17ROCPRIM_400000_NS6detail17trampoline_kernelINS0_14default_configENS1_20scan_config_selectorIiEEZZNS1_9scan_implILNS1_25lookback_scan_determinismE0ELb0ELb0ES3_N6thrust23THRUST_200600_302600_NS6detail15normal_iteratorINS9_10device_ptrIiEEEESE_iNS9_4plusIvEEiEEDaPvRmT3_T4_T5_mT6_P12ihipStream_tbENKUlT_T0_E_clISt17integral_constantIbLb1EEST_IbLb0EEEEDaSP_SQ_EUlSP_E0_NS1_11comp_targetILNS1_3genE5ELNS1_11target_archE942ELNS1_3gpuE9ELNS1_3repE0EEENS1_30default_config_static_selectorELNS0_4arch9wavefront6targetE0EEEvT1_
                                        ; -- End function
	.section	.AMDGPU.csdata,"",@progbits
; Kernel info:
; codeLenInByte = 0
; NumSgprs: 0
; NumVgprs: 0
; ScratchSize: 0
; MemoryBound: 0
; FloatMode: 240
; IeeeMode: 1
; LDSByteSize: 0 bytes/workgroup (compile time only)
; SGPRBlocks: 0
; VGPRBlocks: 0
; NumSGPRsForWavesPerEU: 1
; NumVGPRsForWavesPerEU: 1
; Occupancy: 16
; WaveLimiterHint : 0
; COMPUTE_PGM_RSRC2:SCRATCH_EN: 0
; COMPUTE_PGM_RSRC2:USER_SGPR: 15
; COMPUTE_PGM_RSRC2:TRAP_HANDLER: 0
; COMPUTE_PGM_RSRC2:TGID_X_EN: 1
; COMPUTE_PGM_RSRC2:TGID_Y_EN: 0
; COMPUTE_PGM_RSRC2:TGID_Z_EN: 0
; COMPUTE_PGM_RSRC2:TIDIG_COMP_CNT: 0
	.section	.text._ZN7rocprim17ROCPRIM_400000_NS6detail17trampoline_kernelINS0_14default_configENS1_20scan_config_selectorIiEEZZNS1_9scan_implILNS1_25lookback_scan_determinismE0ELb0ELb0ES3_N6thrust23THRUST_200600_302600_NS6detail15normal_iteratorINS9_10device_ptrIiEEEESE_iNS9_4plusIvEEiEEDaPvRmT3_T4_T5_mT6_P12ihipStream_tbENKUlT_T0_E_clISt17integral_constantIbLb1EEST_IbLb0EEEEDaSP_SQ_EUlSP_E0_NS1_11comp_targetILNS1_3genE4ELNS1_11target_archE910ELNS1_3gpuE8ELNS1_3repE0EEENS1_30default_config_static_selectorELNS0_4arch9wavefront6targetE0EEEvT1_,"axG",@progbits,_ZN7rocprim17ROCPRIM_400000_NS6detail17trampoline_kernelINS0_14default_configENS1_20scan_config_selectorIiEEZZNS1_9scan_implILNS1_25lookback_scan_determinismE0ELb0ELb0ES3_N6thrust23THRUST_200600_302600_NS6detail15normal_iteratorINS9_10device_ptrIiEEEESE_iNS9_4plusIvEEiEEDaPvRmT3_T4_T5_mT6_P12ihipStream_tbENKUlT_T0_E_clISt17integral_constantIbLb1EEST_IbLb0EEEEDaSP_SQ_EUlSP_E0_NS1_11comp_targetILNS1_3genE4ELNS1_11target_archE910ELNS1_3gpuE8ELNS1_3repE0EEENS1_30default_config_static_selectorELNS0_4arch9wavefront6targetE0EEEvT1_,comdat
	.protected	_ZN7rocprim17ROCPRIM_400000_NS6detail17trampoline_kernelINS0_14default_configENS1_20scan_config_selectorIiEEZZNS1_9scan_implILNS1_25lookback_scan_determinismE0ELb0ELb0ES3_N6thrust23THRUST_200600_302600_NS6detail15normal_iteratorINS9_10device_ptrIiEEEESE_iNS9_4plusIvEEiEEDaPvRmT3_T4_T5_mT6_P12ihipStream_tbENKUlT_T0_E_clISt17integral_constantIbLb1EEST_IbLb0EEEEDaSP_SQ_EUlSP_E0_NS1_11comp_targetILNS1_3genE4ELNS1_11target_archE910ELNS1_3gpuE8ELNS1_3repE0EEENS1_30default_config_static_selectorELNS0_4arch9wavefront6targetE0EEEvT1_ ; -- Begin function _ZN7rocprim17ROCPRIM_400000_NS6detail17trampoline_kernelINS0_14default_configENS1_20scan_config_selectorIiEEZZNS1_9scan_implILNS1_25lookback_scan_determinismE0ELb0ELb0ES3_N6thrust23THRUST_200600_302600_NS6detail15normal_iteratorINS9_10device_ptrIiEEEESE_iNS9_4plusIvEEiEEDaPvRmT3_T4_T5_mT6_P12ihipStream_tbENKUlT_T0_E_clISt17integral_constantIbLb1EEST_IbLb0EEEEDaSP_SQ_EUlSP_E0_NS1_11comp_targetILNS1_3genE4ELNS1_11target_archE910ELNS1_3gpuE8ELNS1_3repE0EEENS1_30default_config_static_selectorELNS0_4arch9wavefront6targetE0EEEvT1_
	.globl	_ZN7rocprim17ROCPRIM_400000_NS6detail17trampoline_kernelINS0_14default_configENS1_20scan_config_selectorIiEEZZNS1_9scan_implILNS1_25lookback_scan_determinismE0ELb0ELb0ES3_N6thrust23THRUST_200600_302600_NS6detail15normal_iteratorINS9_10device_ptrIiEEEESE_iNS9_4plusIvEEiEEDaPvRmT3_T4_T5_mT6_P12ihipStream_tbENKUlT_T0_E_clISt17integral_constantIbLb1EEST_IbLb0EEEEDaSP_SQ_EUlSP_E0_NS1_11comp_targetILNS1_3genE4ELNS1_11target_archE910ELNS1_3gpuE8ELNS1_3repE0EEENS1_30default_config_static_selectorELNS0_4arch9wavefront6targetE0EEEvT1_
	.p2align	8
	.type	_ZN7rocprim17ROCPRIM_400000_NS6detail17trampoline_kernelINS0_14default_configENS1_20scan_config_selectorIiEEZZNS1_9scan_implILNS1_25lookback_scan_determinismE0ELb0ELb0ES3_N6thrust23THRUST_200600_302600_NS6detail15normal_iteratorINS9_10device_ptrIiEEEESE_iNS9_4plusIvEEiEEDaPvRmT3_T4_T5_mT6_P12ihipStream_tbENKUlT_T0_E_clISt17integral_constantIbLb1EEST_IbLb0EEEEDaSP_SQ_EUlSP_E0_NS1_11comp_targetILNS1_3genE4ELNS1_11target_archE910ELNS1_3gpuE8ELNS1_3repE0EEENS1_30default_config_static_selectorELNS0_4arch9wavefront6targetE0EEEvT1_,@function
_ZN7rocprim17ROCPRIM_400000_NS6detail17trampoline_kernelINS0_14default_configENS1_20scan_config_selectorIiEEZZNS1_9scan_implILNS1_25lookback_scan_determinismE0ELb0ELb0ES3_N6thrust23THRUST_200600_302600_NS6detail15normal_iteratorINS9_10device_ptrIiEEEESE_iNS9_4plusIvEEiEEDaPvRmT3_T4_T5_mT6_P12ihipStream_tbENKUlT_T0_E_clISt17integral_constantIbLb1EEST_IbLb0EEEEDaSP_SQ_EUlSP_E0_NS1_11comp_targetILNS1_3genE4ELNS1_11target_archE910ELNS1_3gpuE8ELNS1_3repE0EEENS1_30default_config_static_selectorELNS0_4arch9wavefront6targetE0EEEvT1_: ; @_ZN7rocprim17ROCPRIM_400000_NS6detail17trampoline_kernelINS0_14default_configENS1_20scan_config_selectorIiEEZZNS1_9scan_implILNS1_25lookback_scan_determinismE0ELb0ELb0ES3_N6thrust23THRUST_200600_302600_NS6detail15normal_iteratorINS9_10device_ptrIiEEEESE_iNS9_4plusIvEEiEEDaPvRmT3_T4_T5_mT6_P12ihipStream_tbENKUlT_T0_E_clISt17integral_constantIbLb1EEST_IbLb0EEEEDaSP_SQ_EUlSP_E0_NS1_11comp_targetILNS1_3genE4ELNS1_11target_archE910ELNS1_3gpuE8ELNS1_3repE0EEENS1_30default_config_static_selectorELNS0_4arch9wavefront6targetE0EEEvT1_
; %bb.0:
	.section	.rodata,"a",@progbits
	.p2align	6, 0x0
	.amdhsa_kernel _ZN7rocprim17ROCPRIM_400000_NS6detail17trampoline_kernelINS0_14default_configENS1_20scan_config_selectorIiEEZZNS1_9scan_implILNS1_25lookback_scan_determinismE0ELb0ELb0ES3_N6thrust23THRUST_200600_302600_NS6detail15normal_iteratorINS9_10device_ptrIiEEEESE_iNS9_4plusIvEEiEEDaPvRmT3_T4_T5_mT6_P12ihipStream_tbENKUlT_T0_E_clISt17integral_constantIbLb1EEST_IbLb0EEEEDaSP_SQ_EUlSP_E0_NS1_11comp_targetILNS1_3genE4ELNS1_11target_archE910ELNS1_3gpuE8ELNS1_3repE0EEENS1_30default_config_static_selectorELNS0_4arch9wavefront6targetE0EEEvT1_
		.amdhsa_group_segment_fixed_size 0
		.amdhsa_private_segment_fixed_size 0
		.amdhsa_kernarg_size 32
		.amdhsa_user_sgpr_count 15
		.amdhsa_user_sgpr_dispatch_ptr 0
		.amdhsa_user_sgpr_queue_ptr 0
		.amdhsa_user_sgpr_kernarg_segment_ptr 1
		.amdhsa_user_sgpr_dispatch_id 0
		.amdhsa_user_sgpr_private_segment_size 0
		.amdhsa_wavefront_size32 1
		.amdhsa_uses_dynamic_stack 0
		.amdhsa_enable_private_segment 0
		.amdhsa_system_sgpr_workgroup_id_x 1
		.amdhsa_system_sgpr_workgroup_id_y 0
		.amdhsa_system_sgpr_workgroup_id_z 0
		.amdhsa_system_sgpr_workgroup_info 0
		.amdhsa_system_vgpr_workitem_id 0
		.amdhsa_next_free_vgpr 1
		.amdhsa_next_free_sgpr 1
		.amdhsa_reserve_vcc 0
		.amdhsa_float_round_mode_32 0
		.amdhsa_float_round_mode_16_64 0
		.amdhsa_float_denorm_mode_32 3
		.amdhsa_float_denorm_mode_16_64 3
		.amdhsa_dx10_clamp 1
		.amdhsa_ieee_mode 1
		.amdhsa_fp16_overflow 0
		.amdhsa_workgroup_processor_mode 1
		.amdhsa_memory_ordered 1
		.amdhsa_forward_progress 0
		.amdhsa_shared_vgpr_count 0
		.amdhsa_exception_fp_ieee_invalid_op 0
		.amdhsa_exception_fp_denorm_src 0
		.amdhsa_exception_fp_ieee_div_zero 0
		.amdhsa_exception_fp_ieee_overflow 0
		.amdhsa_exception_fp_ieee_underflow 0
		.amdhsa_exception_fp_ieee_inexact 0
		.amdhsa_exception_int_div_zero 0
	.end_amdhsa_kernel
	.section	.text._ZN7rocprim17ROCPRIM_400000_NS6detail17trampoline_kernelINS0_14default_configENS1_20scan_config_selectorIiEEZZNS1_9scan_implILNS1_25lookback_scan_determinismE0ELb0ELb0ES3_N6thrust23THRUST_200600_302600_NS6detail15normal_iteratorINS9_10device_ptrIiEEEESE_iNS9_4plusIvEEiEEDaPvRmT3_T4_T5_mT6_P12ihipStream_tbENKUlT_T0_E_clISt17integral_constantIbLb1EEST_IbLb0EEEEDaSP_SQ_EUlSP_E0_NS1_11comp_targetILNS1_3genE4ELNS1_11target_archE910ELNS1_3gpuE8ELNS1_3repE0EEENS1_30default_config_static_selectorELNS0_4arch9wavefront6targetE0EEEvT1_,"axG",@progbits,_ZN7rocprim17ROCPRIM_400000_NS6detail17trampoline_kernelINS0_14default_configENS1_20scan_config_selectorIiEEZZNS1_9scan_implILNS1_25lookback_scan_determinismE0ELb0ELb0ES3_N6thrust23THRUST_200600_302600_NS6detail15normal_iteratorINS9_10device_ptrIiEEEESE_iNS9_4plusIvEEiEEDaPvRmT3_T4_T5_mT6_P12ihipStream_tbENKUlT_T0_E_clISt17integral_constantIbLb1EEST_IbLb0EEEEDaSP_SQ_EUlSP_E0_NS1_11comp_targetILNS1_3genE4ELNS1_11target_archE910ELNS1_3gpuE8ELNS1_3repE0EEENS1_30default_config_static_selectorELNS0_4arch9wavefront6targetE0EEEvT1_,comdat
.Lfunc_end60:
	.size	_ZN7rocprim17ROCPRIM_400000_NS6detail17trampoline_kernelINS0_14default_configENS1_20scan_config_selectorIiEEZZNS1_9scan_implILNS1_25lookback_scan_determinismE0ELb0ELb0ES3_N6thrust23THRUST_200600_302600_NS6detail15normal_iteratorINS9_10device_ptrIiEEEESE_iNS9_4plusIvEEiEEDaPvRmT3_T4_T5_mT6_P12ihipStream_tbENKUlT_T0_E_clISt17integral_constantIbLb1EEST_IbLb0EEEEDaSP_SQ_EUlSP_E0_NS1_11comp_targetILNS1_3genE4ELNS1_11target_archE910ELNS1_3gpuE8ELNS1_3repE0EEENS1_30default_config_static_selectorELNS0_4arch9wavefront6targetE0EEEvT1_, .Lfunc_end60-_ZN7rocprim17ROCPRIM_400000_NS6detail17trampoline_kernelINS0_14default_configENS1_20scan_config_selectorIiEEZZNS1_9scan_implILNS1_25lookback_scan_determinismE0ELb0ELb0ES3_N6thrust23THRUST_200600_302600_NS6detail15normal_iteratorINS9_10device_ptrIiEEEESE_iNS9_4plusIvEEiEEDaPvRmT3_T4_T5_mT6_P12ihipStream_tbENKUlT_T0_E_clISt17integral_constantIbLb1EEST_IbLb0EEEEDaSP_SQ_EUlSP_E0_NS1_11comp_targetILNS1_3genE4ELNS1_11target_archE910ELNS1_3gpuE8ELNS1_3repE0EEENS1_30default_config_static_selectorELNS0_4arch9wavefront6targetE0EEEvT1_
                                        ; -- End function
	.section	.AMDGPU.csdata,"",@progbits
; Kernel info:
; codeLenInByte = 0
; NumSgprs: 0
; NumVgprs: 0
; ScratchSize: 0
; MemoryBound: 0
; FloatMode: 240
; IeeeMode: 1
; LDSByteSize: 0 bytes/workgroup (compile time only)
; SGPRBlocks: 0
; VGPRBlocks: 0
; NumSGPRsForWavesPerEU: 1
; NumVGPRsForWavesPerEU: 1
; Occupancy: 16
; WaveLimiterHint : 0
; COMPUTE_PGM_RSRC2:SCRATCH_EN: 0
; COMPUTE_PGM_RSRC2:USER_SGPR: 15
; COMPUTE_PGM_RSRC2:TRAP_HANDLER: 0
; COMPUTE_PGM_RSRC2:TGID_X_EN: 1
; COMPUTE_PGM_RSRC2:TGID_Y_EN: 0
; COMPUTE_PGM_RSRC2:TGID_Z_EN: 0
; COMPUTE_PGM_RSRC2:TIDIG_COMP_CNT: 0
	.section	.text._ZN7rocprim17ROCPRIM_400000_NS6detail17trampoline_kernelINS0_14default_configENS1_20scan_config_selectorIiEEZZNS1_9scan_implILNS1_25lookback_scan_determinismE0ELb0ELb0ES3_N6thrust23THRUST_200600_302600_NS6detail15normal_iteratorINS9_10device_ptrIiEEEESE_iNS9_4plusIvEEiEEDaPvRmT3_T4_T5_mT6_P12ihipStream_tbENKUlT_T0_E_clISt17integral_constantIbLb1EEST_IbLb0EEEEDaSP_SQ_EUlSP_E0_NS1_11comp_targetILNS1_3genE3ELNS1_11target_archE908ELNS1_3gpuE7ELNS1_3repE0EEENS1_30default_config_static_selectorELNS0_4arch9wavefront6targetE0EEEvT1_,"axG",@progbits,_ZN7rocprim17ROCPRIM_400000_NS6detail17trampoline_kernelINS0_14default_configENS1_20scan_config_selectorIiEEZZNS1_9scan_implILNS1_25lookback_scan_determinismE0ELb0ELb0ES3_N6thrust23THRUST_200600_302600_NS6detail15normal_iteratorINS9_10device_ptrIiEEEESE_iNS9_4plusIvEEiEEDaPvRmT3_T4_T5_mT6_P12ihipStream_tbENKUlT_T0_E_clISt17integral_constantIbLb1EEST_IbLb0EEEEDaSP_SQ_EUlSP_E0_NS1_11comp_targetILNS1_3genE3ELNS1_11target_archE908ELNS1_3gpuE7ELNS1_3repE0EEENS1_30default_config_static_selectorELNS0_4arch9wavefront6targetE0EEEvT1_,comdat
	.protected	_ZN7rocprim17ROCPRIM_400000_NS6detail17trampoline_kernelINS0_14default_configENS1_20scan_config_selectorIiEEZZNS1_9scan_implILNS1_25lookback_scan_determinismE0ELb0ELb0ES3_N6thrust23THRUST_200600_302600_NS6detail15normal_iteratorINS9_10device_ptrIiEEEESE_iNS9_4plusIvEEiEEDaPvRmT3_T4_T5_mT6_P12ihipStream_tbENKUlT_T0_E_clISt17integral_constantIbLb1EEST_IbLb0EEEEDaSP_SQ_EUlSP_E0_NS1_11comp_targetILNS1_3genE3ELNS1_11target_archE908ELNS1_3gpuE7ELNS1_3repE0EEENS1_30default_config_static_selectorELNS0_4arch9wavefront6targetE0EEEvT1_ ; -- Begin function _ZN7rocprim17ROCPRIM_400000_NS6detail17trampoline_kernelINS0_14default_configENS1_20scan_config_selectorIiEEZZNS1_9scan_implILNS1_25lookback_scan_determinismE0ELb0ELb0ES3_N6thrust23THRUST_200600_302600_NS6detail15normal_iteratorINS9_10device_ptrIiEEEESE_iNS9_4plusIvEEiEEDaPvRmT3_T4_T5_mT6_P12ihipStream_tbENKUlT_T0_E_clISt17integral_constantIbLb1EEST_IbLb0EEEEDaSP_SQ_EUlSP_E0_NS1_11comp_targetILNS1_3genE3ELNS1_11target_archE908ELNS1_3gpuE7ELNS1_3repE0EEENS1_30default_config_static_selectorELNS0_4arch9wavefront6targetE0EEEvT1_
	.globl	_ZN7rocprim17ROCPRIM_400000_NS6detail17trampoline_kernelINS0_14default_configENS1_20scan_config_selectorIiEEZZNS1_9scan_implILNS1_25lookback_scan_determinismE0ELb0ELb0ES3_N6thrust23THRUST_200600_302600_NS6detail15normal_iteratorINS9_10device_ptrIiEEEESE_iNS9_4plusIvEEiEEDaPvRmT3_T4_T5_mT6_P12ihipStream_tbENKUlT_T0_E_clISt17integral_constantIbLb1EEST_IbLb0EEEEDaSP_SQ_EUlSP_E0_NS1_11comp_targetILNS1_3genE3ELNS1_11target_archE908ELNS1_3gpuE7ELNS1_3repE0EEENS1_30default_config_static_selectorELNS0_4arch9wavefront6targetE0EEEvT1_
	.p2align	8
	.type	_ZN7rocprim17ROCPRIM_400000_NS6detail17trampoline_kernelINS0_14default_configENS1_20scan_config_selectorIiEEZZNS1_9scan_implILNS1_25lookback_scan_determinismE0ELb0ELb0ES3_N6thrust23THRUST_200600_302600_NS6detail15normal_iteratorINS9_10device_ptrIiEEEESE_iNS9_4plusIvEEiEEDaPvRmT3_T4_T5_mT6_P12ihipStream_tbENKUlT_T0_E_clISt17integral_constantIbLb1EEST_IbLb0EEEEDaSP_SQ_EUlSP_E0_NS1_11comp_targetILNS1_3genE3ELNS1_11target_archE908ELNS1_3gpuE7ELNS1_3repE0EEENS1_30default_config_static_selectorELNS0_4arch9wavefront6targetE0EEEvT1_,@function
_ZN7rocprim17ROCPRIM_400000_NS6detail17trampoline_kernelINS0_14default_configENS1_20scan_config_selectorIiEEZZNS1_9scan_implILNS1_25lookback_scan_determinismE0ELb0ELb0ES3_N6thrust23THRUST_200600_302600_NS6detail15normal_iteratorINS9_10device_ptrIiEEEESE_iNS9_4plusIvEEiEEDaPvRmT3_T4_T5_mT6_P12ihipStream_tbENKUlT_T0_E_clISt17integral_constantIbLb1EEST_IbLb0EEEEDaSP_SQ_EUlSP_E0_NS1_11comp_targetILNS1_3genE3ELNS1_11target_archE908ELNS1_3gpuE7ELNS1_3repE0EEENS1_30default_config_static_selectorELNS0_4arch9wavefront6targetE0EEEvT1_: ; @_ZN7rocprim17ROCPRIM_400000_NS6detail17trampoline_kernelINS0_14default_configENS1_20scan_config_selectorIiEEZZNS1_9scan_implILNS1_25lookback_scan_determinismE0ELb0ELb0ES3_N6thrust23THRUST_200600_302600_NS6detail15normal_iteratorINS9_10device_ptrIiEEEESE_iNS9_4plusIvEEiEEDaPvRmT3_T4_T5_mT6_P12ihipStream_tbENKUlT_T0_E_clISt17integral_constantIbLb1EEST_IbLb0EEEEDaSP_SQ_EUlSP_E0_NS1_11comp_targetILNS1_3genE3ELNS1_11target_archE908ELNS1_3gpuE7ELNS1_3repE0EEENS1_30default_config_static_selectorELNS0_4arch9wavefront6targetE0EEEvT1_
; %bb.0:
	.section	.rodata,"a",@progbits
	.p2align	6, 0x0
	.amdhsa_kernel _ZN7rocprim17ROCPRIM_400000_NS6detail17trampoline_kernelINS0_14default_configENS1_20scan_config_selectorIiEEZZNS1_9scan_implILNS1_25lookback_scan_determinismE0ELb0ELb0ES3_N6thrust23THRUST_200600_302600_NS6detail15normal_iteratorINS9_10device_ptrIiEEEESE_iNS9_4plusIvEEiEEDaPvRmT3_T4_T5_mT6_P12ihipStream_tbENKUlT_T0_E_clISt17integral_constantIbLb1EEST_IbLb0EEEEDaSP_SQ_EUlSP_E0_NS1_11comp_targetILNS1_3genE3ELNS1_11target_archE908ELNS1_3gpuE7ELNS1_3repE0EEENS1_30default_config_static_selectorELNS0_4arch9wavefront6targetE0EEEvT1_
		.amdhsa_group_segment_fixed_size 0
		.amdhsa_private_segment_fixed_size 0
		.amdhsa_kernarg_size 32
		.amdhsa_user_sgpr_count 15
		.amdhsa_user_sgpr_dispatch_ptr 0
		.amdhsa_user_sgpr_queue_ptr 0
		.amdhsa_user_sgpr_kernarg_segment_ptr 1
		.amdhsa_user_sgpr_dispatch_id 0
		.amdhsa_user_sgpr_private_segment_size 0
		.amdhsa_wavefront_size32 1
		.amdhsa_uses_dynamic_stack 0
		.amdhsa_enable_private_segment 0
		.amdhsa_system_sgpr_workgroup_id_x 1
		.amdhsa_system_sgpr_workgroup_id_y 0
		.amdhsa_system_sgpr_workgroup_id_z 0
		.amdhsa_system_sgpr_workgroup_info 0
		.amdhsa_system_vgpr_workitem_id 0
		.amdhsa_next_free_vgpr 1
		.amdhsa_next_free_sgpr 1
		.amdhsa_reserve_vcc 0
		.amdhsa_float_round_mode_32 0
		.amdhsa_float_round_mode_16_64 0
		.amdhsa_float_denorm_mode_32 3
		.amdhsa_float_denorm_mode_16_64 3
		.amdhsa_dx10_clamp 1
		.amdhsa_ieee_mode 1
		.amdhsa_fp16_overflow 0
		.amdhsa_workgroup_processor_mode 1
		.amdhsa_memory_ordered 1
		.amdhsa_forward_progress 0
		.amdhsa_shared_vgpr_count 0
		.amdhsa_exception_fp_ieee_invalid_op 0
		.amdhsa_exception_fp_denorm_src 0
		.amdhsa_exception_fp_ieee_div_zero 0
		.amdhsa_exception_fp_ieee_overflow 0
		.amdhsa_exception_fp_ieee_underflow 0
		.amdhsa_exception_fp_ieee_inexact 0
		.amdhsa_exception_int_div_zero 0
	.end_amdhsa_kernel
	.section	.text._ZN7rocprim17ROCPRIM_400000_NS6detail17trampoline_kernelINS0_14default_configENS1_20scan_config_selectorIiEEZZNS1_9scan_implILNS1_25lookback_scan_determinismE0ELb0ELb0ES3_N6thrust23THRUST_200600_302600_NS6detail15normal_iteratorINS9_10device_ptrIiEEEESE_iNS9_4plusIvEEiEEDaPvRmT3_T4_T5_mT6_P12ihipStream_tbENKUlT_T0_E_clISt17integral_constantIbLb1EEST_IbLb0EEEEDaSP_SQ_EUlSP_E0_NS1_11comp_targetILNS1_3genE3ELNS1_11target_archE908ELNS1_3gpuE7ELNS1_3repE0EEENS1_30default_config_static_selectorELNS0_4arch9wavefront6targetE0EEEvT1_,"axG",@progbits,_ZN7rocprim17ROCPRIM_400000_NS6detail17trampoline_kernelINS0_14default_configENS1_20scan_config_selectorIiEEZZNS1_9scan_implILNS1_25lookback_scan_determinismE0ELb0ELb0ES3_N6thrust23THRUST_200600_302600_NS6detail15normal_iteratorINS9_10device_ptrIiEEEESE_iNS9_4plusIvEEiEEDaPvRmT3_T4_T5_mT6_P12ihipStream_tbENKUlT_T0_E_clISt17integral_constantIbLb1EEST_IbLb0EEEEDaSP_SQ_EUlSP_E0_NS1_11comp_targetILNS1_3genE3ELNS1_11target_archE908ELNS1_3gpuE7ELNS1_3repE0EEENS1_30default_config_static_selectorELNS0_4arch9wavefront6targetE0EEEvT1_,comdat
.Lfunc_end61:
	.size	_ZN7rocprim17ROCPRIM_400000_NS6detail17trampoline_kernelINS0_14default_configENS1_20scan_config_selectorIiEEZZNS1_9scan_implILNS1_25lookback_scan_determinismE0ELb0ELb0ES3_N6thrust23THRUST_200600_302600_NS6detail15normal_iteratorINS9_10device_ptrIiEEEESE_iNS9_4plusIvEEiEEDaPvRmT3_T4_T5_mT6_P12ihipStream_tbENKUlT_T0_E_clISt17integral_constantIbLb1EEST_IbLb0EEEEDaSP_SQ_EUlSP_E0_NS1_11comp_targetILNS1_3genE3ELNS1_11target_archE908ELNS1_3gpuE7ELNS1_3repE0EEENS1_30default_config_static_selectorELNS0_4arch9wavefront6targetE0EEEvT1_, .Lfunc_end61-_ZN7rocprim17ROCPRIM_400000_NS6detail17trampoline_kernelINS0_14default_configENS1_20scan_config_selectorIiEEZZNS1_9scan_implILNS1_25lookback_scan_determinismE0ELb0ELb0ES3_N6thrust23THRUST_200600_302600_NS6detail15normal_iteratorINS9_10device_ptrIiEEEESE_iNS9_4plusIvEEiEEDaPvRmT3_T4_T5_mT6_P12ihipStream_tbENKUlT_T0_E_clISt17integral_constantIbLb1EEST_IbLb0EEEEDaSP_SQ_EUlSP_E0_NS1_11comp_targetILNS1_3genE3ELNS1_11target_archE908ELNS1_3gpuE7ELNS1_3repE0EEENS1_30default_config_static_selectorELNS0_4arch9wavefront6targetE0EEEvT1_
                                        ; -- End function
	.section	.AMDGPU.csdata,"",@progbits
; Kernel info:
; codeLenInByte = 0
; NumSgprs: 0
; NumVgprs: 0
; ScratchSize: 0
; MemoryBound: 0
; FloatMode: 240
; IeeeMode: 1
; LDSByteSize: 0 bytes/workgroup (compile time only)
; SGPRBlocks: 0
; VGPRBlocks: 0
; NumSGPRsForWavesPerEU: 1
; NumVGPRsForWavesPerEU: 1
; Occupancy: 16
; WaveLimiterHint : 0
; COMPUTE_PGM_RSRC2:SCRATCH_EN: 0
; COMPUTE_PGM_RSRC2:USER_SGPR: 15
; COMPUTE_PGM_RSRC2:TRAP_HANDLER: 0
; COMPUTE_PGM_RSRC2:TGID_X_EN: 1
; COMPUTE_PGM_RSRC2:TGID_Y_EN: 0
; COMPUTE_PGM_RSRC2:TGID_Z_EN: 0
; COMPUTE_PGM_RSRC2:TIDIG_COMP_CNT: 0
	.section	.text._ZN7rocprim17ROCPRIM_400000_NS6detail17trampoline_kernelINS0_14default_configENS1_20scan_config_selectorIiEEZZNS1_9scan_implILNS1_25lookback_scan_determinismE0ELb0ELb0ES3_N6thrust23THRUST_200600_302600_NS6detail15normal_iteratorINS9_10device_ptrIiEEEESE_iNS9_4plusIvEEiEEDaPvRmT3_T4_T5_mT6_P12ihipStream_tbENKUlT_T0_E_clISt17integral_constantIbLb1EEST_IbLb0EEEEDaSP_SQ_EUlSP_E0_NS1_11comp_targetILNS1_3genE2ELNS1_11target_archE906ELNS1_3gpuE6ELNS1_3repE0EEENS1_30default_config_static_selectorELNS0_4arch9wavefront6targetE0EEEvT1_,"axG",@progbits,_ZN7rocprim17ROCPRIM_400000_NS6detail17trampoline_kernelINS0_14default_configENS1_20scan_config_selectorIiEEZZNS1_9scan_implILNS1_25lookback_scan_determinismE0ELb0ELb0ES3_N6thrust23THRUST_200600_302600_NS6detail15normal_iteratorINS9_10device_ptrIiEEEESE_iNS9_4plusIvEEiEEDaPvRmT3_T4_T5_mT6_P12ihipStream_tbENKUlT_T0_E_clISt17integral_constantIbLb1EEST_IbLb0EEEEDaSP_SQ_EUlSP_E0_NS1_11comp_targetILNS1_3genE2ELNS1_11target_archE906ELNS1_3gpuE6ELNS1_3repE0EEENS1_30default_config_static_selectorELNS0_4arch9wavefront6targetE0EEEvT1_,comdat
	.protected	_ZN7rocprim17ROCPRIM_400000_NS6detail17trampoline_kernelINS0_14default_configENS1_20scan_config_selectorIiEEZZNS1_9scan_implILNS1_25lookback_scan_determinismE0ELb0ELb0ES3_N6thrust23THRUST_200600_302600_NS6detail15normal_iteratorINS9_10device_ptrIiEEEESE_iNS9_4plusIvEEiEEDaPvRmT3_T4_T5_mT6_P12ihipStream_tbENKUlT_T0_E_clISt17integral_constantIbLb1EEST_IbLb0EEEEDaSP_SQ_EUlSP_E0_NS1_11comp_targetILNS1_3genE2ELNS1_11target_archE906ELNS1_3gpuE6ELNS1_3repE0EEENS1_30default_config_static_selectorELNS0_4arch9wavefront6targetE0EEEvT1_ ; -- Begin function _ZN7rocprim17ROCPRIM_400000_NS6detail17trampoline_kernelINS0_14default_configENS1_20scan_config_selectorIiEEZZNS1_9scan_implILNS1_25lookback_scan_determinismE0ELb0ELb0ES3_N6thrust23THRUST_200600_302600_NS6detail15normal_iteratorINS9_10device_ptrIiEEEESE_iNS9_4plusIvEEiEEDaPvRmT3_T4_T5_mT6_P12ihipStream_tbENKUlT_T0_E_clISt17integral_constantIbLb1EEST_IbLb0EEEEDaSP_SQ_EUlSP_E0_NS1_11comp_targetILNS1_3genE2ELNS1_11target_archE906ELNS1_3gpuE6ELNS1_3repE0EEENS1_30default_config_static_selectorELNS0_4arch9wavefront6targetE0EEEvT1_
	.globl	_ZN7rocprim17ROCPRIM_400000_NS6detail17trampoline_kernelINS0_14default_configENS1_20scan_config_selectorIiEEZZNS1_9scan_implILNS1_25lookback_scan_determinismE0ELb0ELb0ES3_N6thrust23THRUST_200600_302600_NS6detail15normal_iteratorINS9_10device_ptrIiEEEESE_iNS9_4plusIvEEiEEDaPvRmT3_T4_T5_mT6_P12ihipStream_tbENKUlT_T0_E_clISt17integral_constantIbLb1EEST_IbLb0EEEEDaSP_SQ_EUlSP_E0_NS1_11comp_targetILNS1_3genE2ELNS1_11target_archE906ELNS1_3gpuE6ELNS1_3repE0EEENS1_30default_config_static_selectorELNS0_4arch9wavefront6targetE0EEEvT1_
	.p2align	8
	.type	_ZN7rocprim17ROCPRIM_400000_NS6detail17trampoline_kernelINS0_14default_configENS1_20scan_config_selectorIiEEZZNS1_9scan_implILNS1_25lookback_scan_determinismE0ELb0ELb0ES3_N6thrust23THRUST_200600_302600_NS6detail15normal_iteratorINS9_10device_ptrIiEEEESE_iNS9_4plusIvEEiEEDaPvRmT3_T4_T5_mT6_P12ihipStream_tbENKUlT_T0_E_clISt17integral_constantIbLb1EEST_IbLb0EEEEDaSP_SQ_EUlSP_E0_NS1_11comp_targetILNS1_3genE2ELNS1_11target_archE906ELNS1_3gpuE6ELNS1_3repE0EEENS1_30default_config_static_selectorELNS0_4arch9wavefront6targetE0EEEvT1_,@function
_ZN7rocprim17ROCPRIM_400000_NS6detail17trampoline_kernelINS0_14default_configENS1_20scan_config_selectorIiEEZZNS1_9scan_implILNS1_25lookback_scan_determinismE0ELb0ELb0ES3_N6thrust23THRUST_200600_302600_NS6detail15normal_iteratorINS9_10device_ptrIiEEEESE_iNS9_4plusIvEEiEEDaPvRmT3_T4_T5_mT6_P12ihipStream_tbENKUlT_T0_E_clISt17integral_constantIbLb1EEST_IbLb0EEEEDaSP_SQ_EUlSP_E0_NS1_11comp_targetILNS1_3genE2ELNS1_11target_archE906ELNS1_3gpuE6ELNS1_3repE0EEENS1_30default_config_static_selectorELNS0_4arch9wavefront6targetE0EEEvT1_: ; @_ZN7rocprim17ROCPRIM_400000_NS6detail17trampoline_kernelINS0_14default_configENS1_20scan_config_selectorIiEEZZNS1_9scan_implILNS1_25lookback_scan_determinismE0ELb0ELb0ES3_N6thrust23THRUST_200600_302600_NS6detail15normal_iteratorINS9_10device_ptrIiEEEESE_iNS9_4plusIvEEiEEDaPvRmT3_T4_T5_mT6_P12ihipStream_tbENKUlT_T0_E_clISt17integral_constantIbLb1EEST_IbLb0EEEEDaSP_SQ_EUlSP_E0_NS1_11comp_targetILNS1_3genE2ELNS1_11target_archE906ELNS1_3gpuE6ELNS1_3repE0EEENS1_30default_config_static_selectorELNS0_4arch9wavefront6targetE0EEEvT1_
; %bb.0:
	.section	.rodata,"a",@progbits
	.p2align	6, 0x0
	.amdhsa_kernel _ZN7rocprim17ROCPRIM_400000_NS6detail17trampoline_kernelINS0_14default_configENS1_20scan_config_selectorIiEEZZNS1_9scan_implILNS1_25lookback_scan_determinismE0ELb0ELb0ES3_N6thrust23THRUST_200600_302600_NS6detail15normal_iteratorINS9_10device_ptrIiEEEESE_iNS9_4plusIvEEiEEDaPvRmT3_T4_T5_mT6_P12ihipStream_tbENKUlT_T0_E_clISt17integral_constantIbLb1EEST_IbLb0EEEEDaSP_SQ_EUlSP_E0_NS1_11comp_targetILNS1_3genE2ELNS1_11target_archE906ELNS1_3gpuE6ELNS1_3repE0EEENS1_30default_config_static_selectorELNS0_4arch9wavefront6targetE0EEEvT1_
		.amdhsa_group_segment_fixed_size 0
		.amdhsa_private_segment_fixed_size 0
		.amdhsa_kernarg_size 32
		.amdhsa_user_sgpr_count 15
		.amdhsa_user_sgpr_dispatch_ptr 0
		.amdhsa_user_sgpr_queue_ptr 0
		.amdhsa_user_sgpr_kernarg_segment_ptr 1
		.amdhsa_user_sgpr_dispatch_id 0
		.amdhsa_user_sgpr_private_segment_size 0
		.amdhsa_wavefront_size32 1
		.amdhsa_uses_dynamic_stack 0
		.amdhsa_enable_private_segment 0
		.amdhsa_system_sgpr_workgroup_id_x 1
		.amdhsa_system_sgpr_workgroup_id_y 0
		.amdhsa_system_sgpr_workgroup_id_z 0
		.amdhsa_system_sgpr_workgroup_info 0
		.amdhsa_system_vgpr_workitem_id 0
		.amdhsa_next_free_vgpr 1
		.amdhsa_next_free_sgpr 1
		.amdhsa_reserve_vcc 0
		.amdhsa_float_round_mode_32 0
		.amdhsa_float_round_mode_16_64 0
		.amdhsa_float_denorm_mode_32 3
		.amdhsa_float_denorm_mode_16_64 3
		.amdhsa_dx10_clamp 1
		.amdhsa_ieee_mode 1
		.amdhsa_fp16_overflow 0
		.amdhsa_workgroup_processor_mode 1
		.amdhsa_memory_ordered 1
		.amdhsa_forward_progress 0
		.amdhsa_shared_vgpr_count 0
		.amdhsa_exception_fp_ieee_invalid_op 0
		.amdhsa_exception_fp_denorm_src 0
		.amdhsa_exception_fp_ieee_div_zero 0
		.amdhsa_exception_fp_ieee_overflow 0
		.amdhsa_exception_fp_ieee_underflow 0
		.amdhsa_exception_fp_ieee_inexact 0
		.amdhsa_exception_int_div_zero 0
	.end_amdhsa_kernel
	.section	.text._ZN7rocprim17ROCPRIM_400000_NS6detail17trampoline_kernelINS0_14default_configENS1_20scan_config_selectorIiEEZZNS1_9scan_implILNS1_25lookback_scan_determinismE0ELb0ELb0ES3_N6thrust23THRUST_200600_302600_NS6detail15normal_iteratorINS9_10device_ptrIiEEEESE_iNS9_4plusIvEEiEEDaPvRmT3_T4_T5_mT6_P12ihipStream_tbENKUlT_T0_E_clISt17integral_constantIbLb1EEST_IbLb0EEEEDaSP_SQ_EUlSP_E0_NS1_11comp_targetILNS1_3genE2ELNS1_11target_archE906ELNS1_3gpuE6ELNS1_3repE0EEENS1_30default_config_static_selectorELNS0_4arch9wavefront6targetE0EEEvT1_,"axG",@progbits,_ZN7rocprim17ROCPRIM_400000_NS6detail17trampoline_kernelINS0_14default_configENS1_20scan_config_selectorIiEEZZNS1_9scan_implILNS1_25lookback_scan_determinismE0ELb0ELb0ES3_N6thrust23THRUST_200600_302600_NS6detail15normal_iteratorINS9_10device_ptrIiEEEESE_iNS9_4plusIvEEiEEDaPvRmT3_T4_T5_mT6_P12ihipStream_tbENKUlT_T0_E_clISt17integral_constantIbLb1EEST_IbLb0EEEEDaSP_SQ_EUlSP_E0_NS1_11comp_targetILNS1_3genE2ELNS1_11target_archE906ELNS1_3gpuE6ELNS1_3repE0EEENS1_30default_config_static_selectorELNS0_4arch9wavefront6targetE0EEEvT1_,comdat
.Lfunc_end62:
	.size	_ZN7rocprim17ROCPRIM_400000_NS6detail17trampoline_kernelINS0_14default_configENS1_20scan_config_selectorIiEEZZNS1_9scan_implILNS1_25lookback_scan_determinismE0ELb0ELb0ES3_N6thrust23THRUST_200600_302600_NS6detail15normal_iteratorINS9_10device_ptrIiEEEESE_iNS9_4plusIvEEiEEDaPvRmT3_T4_T5_mT6_P12ihipStream_tbENKUlT_T0_E_clISt17integral_constantIbLb1EEST_IbLb0EEEEDaSP_SQ_EUlSP_E0_NS1_11comp_targetILNS1_3genE2ELNS1_11target_archE906ELNS1_3gpuE6ELNS1_3repE0EEENS1_30default_config_static_selectorELNS0_4arch9wavefront6targetE0EEEvT1_, .Lfunc_end62-_ZN7rocprim17ROCPRIM_400000_NS6detail17trampoline_kernelINS0_14default_configENS1_20scan_config_selectorIiEEZZNS1_9scan_implILNS1_25lookback_scan_determinismE0ELb0ELb0ES3_N6thrust23THRUST_200600_302600_NS6detail15normal_iteratorINS9_10device_ptrIiEEEESE_iNS9_4plusIvEEiEEDaPvRmT3_T4_T5_mT6_P12ihipStream_tbENKUlT_T0_E_clISt17integral_constantIbLb1EEST_IbLb0EEEEDaSP_SQ_EUlSP_E0_NS1_11comp_targetILNS1_3genE2ELNS1_11target_archE906ELNS1_3gpuE6ELNS1_3repE0EEENS1_30default_config_static_selectorELNS0_4arch9wavefront6targetE0EEEvT1_
                                        ; -- End function
	.section	.AMDGPU.csdata,"",@progbits
; Kernel info:
; codeLenInByte = 0
; NumSgprs: 0
; NumVgprs: 0
; ScratchSize: 0
; MemoryBound: 0
; FloatMode: 240
; IeeeMode: 1
; LDSByteSize: 0 bytes/workgroup (compile time only)
; SGPRBlocks: 0
; VGPRBlocks: 0
; NumSGPRsForWavesPerEU: 1
; NumVGPRsForWavesPerEU: 1
; Occupancy: 16
; WaveLimiterHint : 0
; COMPUTE_PGM_RSRC2:SCRATCH_EN: 0
; COMPUTE_PGM_RSRC2:USER_SGPR: 15
; COMPUTE_PGM_RSRC2:TRAP_HANDLER: 0
; COMPUTE_PGM_RSRC2:TGID_X_EN: 1
; COMPUTE_PGM_RSRC2:TGID_Y_EN: 0
; COMPUTE_PGM_RSRC2:TGID_Z_EN: 0
; COMPUTE_PGM_RSRC2:TIDIG_COMP_CNT: 0
	.section	.text._ZN7rocprim17ROCPRIM_400000_NS6detail17trampoline_kernelINS0_14default_configENS1_20scan_config_selectorIiEEZZNS1_9scan_implILNS1_25lookback_scan_determinismE0ELb0ELb0ES3_N6thrust23THRUST_200600_302600_NS6detail15normal_iteratorINS9_10device_ptrIiEEEESE_iNS9_4plusIvEEiEEDaPvRmT3_T4_T5_mT6_P12ihipStream_tbENKUlT_T0_E_clISt17integral_constantIbLb1EEST_IbLb0EEEEDaSP_SQ_EUlSP_E0_NS1_11comp_targetILNS1_3genE10ELNS1_11target_archE1201ELNS1_3gpuE5ELNS1_3repE0EEENS1_30default_config_static_selectorELNS0_4arch9wavefront6targetE0EEEvT1_,"axG",@progbits,_ZN7rocprim17ROCPRIM_400000_NS6detail17trampoline_kernelINS0_14default_configENS1_20scan_config_selectorIiEEZZNS1_9scan_implILNS1_25lookback_scan_determinismE0ELb0ELb0ES3_N6thrust23THRUST_200600_302600_NS6detail15normal_iteratorINS9_10device_ptrIiEEEESE_iNS9_4plusIvEEiEEDaPvRmT3_T4_T5_mT6_P12ihipStream_tbENKUlT_T0_E_clISt17integral_constantIbLb1EEST_IbLb0EEEEDaSP_SQ_EUlSP_E0_NS1_11comp_targetILNS1_3genE10ELNS1_11target_archE1201ELNS1_3gpuE5ELNS1_3repE0EEENS1_30default_config_static_selectorELNS0_4arch9wavefront6targetE0EEEvT1_,comdat
	.protected	_ZN7rocprim17ROCPRIM_400000_NS6detail17trampoline_kernelINS0_14default_configENS1_20scan_config_selectorIiEEZZNS1_9scan_implILNS1_25lookback_scan_determinismE0ELb0ELb0ES3_N6thrust23THRUST_200600_302600_NS6detail15normal_iteratorINS9_10device_ptrIiEEEESE_iNS9_4plusIvEEiEEDaPvRmT3_T4_T5_mT6_P12ihipStream_tbENKUlT_T0_E_clISt17integral_constantIbLb1EEST_IbLb0EEEEDaSP_SQ_EUlSP_E0_NS1_11comp_targetILNS1_3genE10ELNS1_11target_archE1201ELNS1_3gpuE5ELNS1_3repE0EEENS1_30default_config_static_selectorELNS0_4arch9wavefront6targetE0EEEvT1_ ; -- Begin function _ZN7rocprim17ROCPRIM_400000_NS6detail17trampoline_kernelINS0_14default_configENS1_20scan_config_selectorIiEEZZNS1_9scan_implILNS1_25lookback_scan_determinismE0ELb0ELb0ES3_N6thrust23THRUST_200600_302600_NS6detail15normal_iteratorINS9_10device_ptrIiEEEESE_iNS9_4plusIvEEiEEDaPvRmT3_T4_T5_mT6_P12ihipStream_tbENKUlT_T0_E_clISt17integral_constantIbLb1EEST_IbLb0EEEEDaSP_SQ_EUlSP_E0_NS1_11comp_targetILNS1_3genE10ELNS1_11target_archE1201ELNS1_3gpuE5ELNS1_3repE0EEENS1_30default_config_static_selectorELNS0_4arch9wavefront6targetE0EEEvT1_
	.globl	_ZN7rocprim17ROCPRIM_400000_NS6detail17trampoline_kernelINS0_14default_configENS1_20scan_config_selectorIiEEZZNS1_9scan_implILNS1_25lookback_scan_determinismE0ELb0ELb0ES3_N6thrust23THRUST_200600_302600_NS6detail15normal_iteratorINS9_10device_ptrIiEEEESE_iNS9_4plusIvEEiEEDaPvRmT3_T4_T5_mT6_P12ihipStream_tbENKUlT_T0_E_clISt17integral_constantIbLb1EEST_IbLb0EEEEDaSP_SQ_EUlSP_E0_NS1_11comp_targetILNS1_3genE10ELNS1_11target_archE1201ELNS1_3gpuE5ELNS1_3repE0EEENS1_30default_config_static_selectorELNS0_4arch9wavefront6targetE0EEEvT1_
	.p2align	8
	.type	_ZN7rocprim17ROCPRIM_400000_NS6detail17trampoline_kernelINS0_14default_configENS1_20scan_config_selectorIiEEZZNS1_9scan_implILNS1_25lookback_scan_determinismE0ELb0ELb0ES3_N6thrust23THRUST_200600_302600_NS6detail15normal_iteratorINS9_10device_ptrIiEEEESE_iNS9_4plusIvEEiEEDaPvRmT3_T4_T5_mT6_P12ihipStream_tbENKUlT_T0_E_clISt17integral_constantIbLb1EEST_IbLb0EEEEDaSP_SQ_EUlSP_E0_NS1_11comp_targetILNS1_3genE10ELNS1_11target_archE1201ELNS1_3gpuE5ELNS1_3repE0EEENS1_30default_config_static_selectorELNS0_4arch9wavefront6targetE0EEEvT1_,@function
_ZN7rocprim17ROCPRIM_400000_NS6detail17trampoline_kernelINS0_14default_configENS1_20scan_config_selectorIiEEZZNS1_9scan_implILNS1_25lookback_scan_determinismE0ELb0ELb0ES3_N6thrust23THRUST_200600_302600_NS6detail15normal_iteratorINS9_10device_ptrIiEEEESE_iNS9_4plusIvEEiEEDaPvRmT3_T4_T5_mT6_P12ihipStream_tbENKUlT_T0_E_clISt17integral_constantIbLb1EEST_IbLb0EEEEDaSP_SQ_EUlSP_E0_NS1_11comp_targetILNS1_3genE10ELNS1_11target_archE1201ELNS1_3gpuE5ELNS1_3repE0EEENS1_30default_config_static_selectorELNS0_4arch9wavefront6targetE0EEEvT1_: ; @_ZN7rocprim17ROCPRIM_400000_NS6detail17trampoline_kernelINS0_14default_configENS1_20scan_config_selectorIiEEZZNS1_9scan_implILNS1_25lookback_scan_determinismE0ELb0ELb0ES3_N6thrust23THRUST_200600_302600_NS6detail15normal_iteratorINS9_10device_ptrIiEEEESE_iNS9_4plusIvEEiEEDaPvRmT3_T4_T5_mT6_P12ihipStream_tbENKUlT_T0_E_clISt17integral_constantIbLb1EEST_IbLb0EEEEDaSP_SQ_EUlSP_E0_NS1_11comp_targetILNS1_3genE10ELNS1_11target_archE1201ELNS1_3gpuE5ELNS1_3repE0EEENS1_30default_config_static_selectorELNS0_4arch9wavefront6targetE0EEEvT1_
; %bb.0:
	.section	.rodata,"a",@progbits
	.p2align	6, 0x0
	.amdhsa_kernel _ZN7rocprim17ROCPRIM_400000_NS6detail17trampoline_kernelINS0_14default_configENS1_20scan_config_selectorIiEEZZNS1_9scan_implILNS1_25lookback_scan_determinismE0ELb0ELb0ES3_N6thrust23THRUST_200600_302600_NS6detail15normal_iteratorINS9_10device_ptrIiEEEESE_iNS9_4plusIvEEiEEDaPvRmT3_T4_T5_mT6_P12ihipStream_tbENKUlT_T0_E_clISt17integral_constantIbLb1EEST_IbLb0EEEEDaSP_SQ_EUlSP_E0_NS1_11comp_targetILNS1_3genE10ELNS1_11target_archE1201ELNS1_3gpuE5ELNS1_3repE0EEENS1_30default_config_static_selectorELNS0_4arch9wavefront6targetE0EEEvT1_
		.amdhsa_group_segment_fixed_size 0
		.amdhsa_private_segment_fixed_size 0
		.amdhsa_kernarg_size 32
		.amdhsa_user_sgpr_count 15
		.amdhsa_user_sgpr_dispatch_ptr 0
		.amdhsa_user_sgpr_queue_ptr 0
		.amdhsa_user_sgpr_kernarg_segment_ptr 1
		.amdhsa_user_sgpr_dispatch_id 0
		.amdhsa_user_sgpr_private_segment_size 0
		.amdhsa_wavefront_size32 1
		.amdhsa_uses_dynamic_stack 0
		.amdhsa_enable_private_segment 0
		.amdhsa_system_sgpr_workgroup_id_x 1
		.amdhsa_system_sgpr_workgroup_id_y 0
		.amdhsa_system_sgpr_workgroup_id_z 0
		.amdhsa_system_sgpr_workgroup_info 0
		.amdhsa_system_vgpr_workitem_id 0
		.amdhsa_next_free_vgpr 1
		.amdhsa_next_free_sgpr 1
		.amdhsa_reserve_vcc 0
		.amdhsa_float_round_mode_32 0
		.amdhsa_float_round_mode_16_64 0
		.amdhsa_float_denorm_mode_32 3
		.amdhsa_float_denorm_mode_16_64 3
		.amdhsa_dx10_clamp 1
		.amdhsa_ieee_mode 1
		.amdhsa_fp16_overflow 0
		.amdhsa_workgroup_processor_mode 1
		.amdhsa_memory_ordered 1
		.amdhsa_forward_progress 0
		.amdhsa_shared_vgpr_count 0
		.amdhsa_exception_fp_ieee_invalid_op 0
		.amdhsa_exception_fp_denorm_src 0
		.amdhsa_exception_fp_ieee_div_zero 0
		.amdhsa_exception_fp_ieee_overflow 0
		.amdhsa_exception_fp_ieee_underflow 0
		.amdhsa_exception_fp_ieee_inexact 0
		.amdhsa_exception_int_div_zero 0
	.end_amdhsa_kernel
	.section	.text._ZN7rocprim17ROCPRIM_400000_NS6detail17trampoline_kernelINS0_14default_configENS1_20scan_config_selectorIiEEZZNS1_9scan_implILNS1_25lookback_scan_determinismE0ELb0ELb0ES3_N6thrust23THRUST_200600_302600_NS6detail15normal_iteratorINS9_10device_ptrIiEEEESE_iNS9_4plusIvEEiEEDaPvRmT3_T4_T5_mT6_P12ihipStream_tbENKUlT_T0_E_clISt17integral_constantIbLb1EEST_IbLb0EEEEDaSP_SQ_EUlSP_E0_NS1_11comp_targetILNS1_3genE10ELNS1_11target_archE1201ELNS1_3gpuE5ELNS1_3repE0EEENS1_30default_config_static_selectorELNS0_4arch9wavefront6targetE0EEEvT1_,"axG",@progbits,_ZN7rocprim17ROCPRIM_400000_NS6detail17trampoline_kernelINS0_14default_configENS1_20scan_config_selectorIiEEZZNS1_9scan_implILNS1_25lookback_scan_determinismE0ELb0ELb0ES3_N6thrust23THRUST_200600_302600_NS6detail15normal_iteratorINS9_10device_ptrIiEEEESE_iNS9_4plusIvEEiEEDaPvRmT3_T4_T5_mT6_P12ihipStream_tbENKUlT_T0_E_clISt17integral_constantIbLb1EEST_IbLb0EEEEDaSP_SQ_EUlSP_E0_NS1_11comp_targetILNS1_3genE10ELNS1_11target_archE1201ELNS1_3gpuE5ELNS1_3repE0EEENS1_30default_config_static_selectorELNS0_4arch9wavefront6targetE0EEEvT1_,comdat
.Lfunc_end63:
	.size	_ZN7rocprim17ROCPRIM_400000_NS6detail17trampoline_kernelINS0_14default_configENS1_20scan_config_selectorIiEEZZNS1_9scan_implILNS1_25lookback_scan_determinismE0ELb0ELb0ES3_N6thrust23THRUST_200600_302600_NS6detail15normal_iteratorINS9_10device_ptrIiEEEESE_iNS9_4plusIvEEiEEDaPvRmT3_T4_T5_mT6_P12ihipStream_tbENKUlT_T0_E_clISt17integral_constantIbLb1EEST_IbLb0EEEEDaSP_SQ_EUlSP_E0_NS1_11comp_targetILNS1_3genE10ELNS1_11target_archE1201ELNS1_3gpuE5ELNS1_3repE0EEENS1_30default_config_static_selectorELNS0_4arch9wavefront6targetE0EEEvT1_, .Lfunc_end63-_ZN7rocprim17ROCPRIM_400000_NS6detail17trampoline_kernelINS0_14default_configENS1_20scan_config_selectorIiEEZZNS1_9scan_implILNS1_25lookback_scan_determinismE0ELb0ELb0ES3_N6thrust23THRUST_200600_302600_NS6detail15normal_iteratorINS9_10device_ptrIiEEEESE_iNS9_4plusIvEEiEEDaPvRmT3_T4_T5_mT6_P12ihipStream_tbENKUlT_T0_E_clISt17integral_constantIbLb1EEST_IbLb0EEEEDaSP_SQ_EUlSP_E0_NS1_11comp_targetILNS1_3genE10ELNS1_11target_archE1201ELNS1_3gpuE5ELNS1_3repE0EEENS1_30default_config_static_selectorELNS0_4arch9wavefront6targetE0EEEvT1_
                                        ; -- End function
	.section	.AMDGPU.csdata,"",@progbits
; Kernel info:
; codeLenInByte = 0
; NumSgprs: 0
; NumVgprs: 0
; ScratchSize: 0
; MemoryBound: 0
; FloatMode: 240
; IeeeMode: 1
; LDSByteSize: 0 bytes/workgroup (compile time only)
; SGPRBlocks: 0
; VGPRBlocks: 0
; NumSGPRsForWavesPerEU: 1
; NumVGPRsForWavesPerEU: 1
; Occupancy: 16
; WaveLimiterHint : 0
; COMPUTE_PGM_RSRC2:SCRATCH_EN: 0
; COMPUTE_PGM_RSRC2:USER_SGPR: 15
; COMPUTE_PGM_RSRC2:TRAP_HANDLER: 0
; COMPUTE_PGM_RSRC2:TGID_X_EN: 1
; COMPUTE_PGM_RSRC2:TGID_Y_EN: 0
; COMPUTE_PGM_RSRC2:TGID_Z_EN: 0
; COMPUTE_PGM_RSRC2:TIDIG_COMP_CNT: 0
	.section	.text._ZN7rocprim17ROCPRIM_400000_NS6detail17trampoline_kernelINS0_14default_configENS1_20scan_config_selectorIiEEZZNS1_9scan_implILNS1_25lookback_scan_determinismE0ELb0ELb0ES3_N6thrust23THRUST_200600_302600_NS6detail15normal_iteratorINS9_10device_ptrIiEEEESE_iNS9_4plusIvEEiEEDaPvRmT3_T4_T5_mT6_P12ihipStream_tbENKUlT_T0_E_clISt17integral_constantIbLb1EEST_IbLb0EEEEDaSP_SQ_EUlSP_E0_NS1_11comp_targetILNS1_3genE10ELNS1_11target_archE1200ELNS1_3gpuE4ELNS1_3repE0EEENS1_30default_config_static_selectorELNS0_4arch9wavefront6targetE0EEEvT1_,"axG",@progbits,_ZN7rocprim17ROCPRIM_400000_NS6detail17trampoline_kernelINS0_14default_configENS1_20scan_config_selectorIiEEZZNS1_9scan_implILNS1_25lookback_scan_determinismE0ELb0ELb0ES3_N6thrust23THRUST_200600_302600_NS6detail15normal_iteratorINS9_10device_ptrIiEEEESE_iNS9_4plusIvEEiEEDaPvRmT3_T4_T5_mT6_P12ihipStream_tbENKUlT_T0_E_clISt17integral_constantIbLb1EEST_IbLb0EEEEDaSP_SQ_EUlSP_E0_NS1_11comp_targetILNS1_3genE10ELNS1_11target_archE1200ELNS1_3gpuE4ELNS1_3repE0EEENS1_30default_config_static_selectorELNS0_4arch9wavefront6targetE0EEEvT1_,comdat
	.protected	_ZN7rocprim17ROCPRIM_400000_NS6detail17trampoline_kernelINS0_14default_configENS1_20scan_config_selectorIiEEZZNS1_9scan_implILNS1_25lookback_scan_determinismE0ELb0ELb0ES3_N6thrust23THRUST_200600_302600_NS6detail15normal_iteratorINS9_10device_ptrIiEEEESE_iNS9_4plusIvEEiEEDaPvRmT3_T4_T5_mT6_P12ihipStream_tbENKUlT_T0_E_clISt17integral_constantIbLb1EEST_IbLb0EEEEDaSP_SQ_EUlSP_E0_NS1_11comp_targetILNS1_3genE10ELNS1_11target_archE1200ELNS1_3gpuE4ELNS1_3repE0EEENS1_30default_config_static_selectorELNS0_4arch9wavefront6targetE0EEEvT1_ ; -- Begin function _ZN7rocprim17ROCPRIM_400000_NS6detail17trampoline_kernelINS0_14default_configENS1_20scan_config_selectorIiEEZZNS1_9scan_implILNS1_25lookback_scan_determinismE0ELb0ELb0ES3_N6thrust23THRUST_200600_302600_NS6detail15normal_iteratorINS9_10device_ptrIiEEEESE_iNS9_4plusIvEEiEEDaPvRmT3_T4_T5_mT6_P12ihipStream_tbENKUlT_T0_E_clISt17integral_constantIbLb1EEST_IbLb0EEEEDaSP_SQ_EUlSP_E0_NS1_11comp_targetILNS1_3genE10ELNS1_11target_archE1200ELNS1_3gpuE4ELNS1_3repE0EEENS1_30default_config_static_selectorELNS0_4arch9wavefront6targetE0EEEvT1_
	.globl	_ZN7rocprim17ROCPRIM_400000_NS6detail17trampoline_kernelINS0_14default_configENS1_20scan_config_selectorIiEEZZNS1_9scan_implILNS1_25lookback_scan_determinismE0ELb0ELb0ES3_N6thrust23THRUST_200600_302600_NS6detail15normal_iteratorINS9_10device_ptrIiEEEESE_iNS9_4plusIvEEiEEDaPvRmT3_T4_T5_mT6_P12ihipStream_tbENKUlT_T0_E_clISt17integral_constantIbLb1EEST_IbLb0EEEEDaSP_SQ_EUlSP_E0_NS1_11comp_targetILNS1_3genE10ELNS1_11target_archE1200ELNS1_3gpuE4ELNS1_3repE0EEENS1_30default_config_static_selectorELNS0_4arch9wavefront6targetE0EEEvT1_
	.p2align	8
	.type	_ZN7rocprim17ROCPRIM_400000_NS6detail17trampoline_kernelINS0_14default_configENS1_20scan_config_selectorIiEEZZNS1_9scan_implILNS1_25lookback_scan_determinismE0ELb0ELb0ES3_N6thrust23THRUST_200600_302600_NS6detail15normal_iteratorINS9_10device_ptrIiEEEESE_iNS9_4plusIvEEiEEDaPvRmT3_T4_T5_mT6_P12ihipStream_tbENKUlT_T0_E_clISt17integral_constantIbLb1EEST_IbLb0EEEEDaSP_SQ_EUlSP_E0_NS1_11comp_targetILNS1_3genE10ELNS1_11target_archE1200ELNS1_3gpuE4ELNS1_3repE0EEENS1_30default_config_static_selectorELNS0_4arch9wavefront6targetE0EEEvT1_,@function
_ZN7rocprim17ROCPRIM_400000_NS6detail17trampoline_kernelINS0_14default_configENS1_20scan_config_selectorIiEEZZNS1_9scan_implILNS1_25lookback_scan_determinismE0ELb0ELb0ES3_N6thrust23THRUST_200600_302600_NS6detail15normal_iteratorINS9_10device_ptrIiEEEESE_iNS9_4plusIvEEiEEDaPvRmT3_T4_T5_mT6_P12ihipStream_tbENKUlT_T0_E_clISt17integral_constantIbLb1EEST_IbLb0EEEEDaSP_SQ_EUlSP_E0_NS1_11comp_targetILNS1_3genE10ELNS1_11target_archE1200ELNS1_3gpuE4ELNS1_3repE0EEENS1_30default_config_static_selectorELNS0_4arch9wavefront6targetE0EEEvT1_: ; @_ZN7rocprim17ROCPRIM_400000_NS6detail17trampoline_kernelINS0_14default_configENS1_20scan_config_selectorIiEEZZNS1_9scan_implILNS1_25lookback_scan_determinismE0ELb0ELb0ES3_N6thrust23THRUST_200600_302600_NS6detail15normal_iteratorINS9_10device_ptrIiEEEESE_iNS9_4plusIvEEiEEDaPvRmT3_T4_T5_mT6_P12ihipStream_tbENKUlT_T0_E_clISt17integral_constantIbLb1EEST_IbLb0EEEEDaSP_SQ_EUlSP_E0_NS1_11comp_targetILNS1_3genE10ELNS1_11target_archE1200ELNS1_3gpuE4ELNS1_3repE0EEENS1_30default_config_static_selectorELNS0_4arch9wavefront6targetE0EEEvT1_
; %bb.0:
	.section	.rodata,"a",@progbits
	.p2align	6, 0x0
	.amdhsa_kernel _ZN7rocprim17ROCPRIM_400000_NS6detail17trampoline_kernelINS0_14default_configENS1_20scan_config_selectorIiEEZZNS1_9scan_implILNS1_25lookback_scan_determinismE0ELb0ELb0ES3_N6thrust23THRUST_200600_302600_NS6detail15normal_iteratorINS9_10device_ptrIiEEEESE_iNS9_4plusIvEEiEEDaPvRmT3_T4_T5_mT6_P12ihipStream_tbENKUlT_T0_E_clISt17integral_constantIbLb1EEST_IbLb0EEEEDaSP_SQ_EUlSP_E0_NS1_11comp_targetILNS1_3genE10ELNS1_11target_archE1200ELNS1_3gpuE4ELNS1_3repE0EEENS1_30default_config_static_selectorELNS0_4arch9wavefront6targetE0EEEvT1_
		.amdhsa_group_segment_fixed_size 0
		.amdhsa_private_segment_fixed_size 0
		.amdhsa_kernarg_size 32
		.amdhsa_user_sgpr_count 15
		.amdhsa_user_sgpr_dispatch_ptr 0
		.amdhsa_user_sgpr_queue_ptr 0
		.amdhsa_user_sgpr_kernarg_segment_ptr 1
		.amdhsa_user_sgpr_dispatch_id 0
		.amdhsa_user_sgpr_private_segment_size 0
		.amdhsa_wavefront_size32 1
		.amdhsa_uses_dynamic_stack 0
		.amdhsa_enable_private_segment 0
		.amdhsa_system_sgpr_workgroup_id_x 1
		.amdhsa_system_sgpr_workgroup_id_y 0
		.amdhsa_system_sgpr_workgroup_id_z 0
		.amdhsa_system_sgpr_workgroup_info 0
		.amdhsa_system_vgpr_workitem_id 0
		.amdhsa_next_free_vgpr 1
		.amdhsa_next_free_sgpr 1
		.amdhsa_reserve_vcc 0
		.amdhsa_float_round_mode_32 0
		.amdhsa_float_round_mode_16_64 0
		.amdhsa_float_denorm_mode_32 3
		.amdhsa_float_denorm_mode_16_64 3
		.amdhsa_dx10_clamp 1
		.amdhsa_ieee_mode 1
		.amdhsa_fp16_overflow 0
		.amdhsa_workgroup_processor_mode 1
		.amdhsa_memory_ordered 1
		.amdhsa_forward_progress 0
		.amdhsa_shared_vgpr_count 0
		.amdhsa_exception_fp_ieee_invalid_op 0
		.amdhsa_exception_fp_denorm_src 0
		.amdhsa_exception_fp_ieee_div_zero 0
		.amdhsa_exception_fp_ieee_overflow 0
		.amdhsa_exception_fp_ieee_underflow 0
		.amdhsa_exception_fp_ieee_inexact 0
		.amdhsa_exception_int_div_zero 0
	.end_amdhsa_kernel
	.section	.text._ZN7rocprim17ROCPRIM_400000_NS6detail17trampoline_kernelINS0_14default_configENS1_20scan_config_selectorIiEEZZNS1_9scan_implILNS1_25lookback_scan_determinismE0ELb0ELb0ES3_N6thrust23THRUST_200600_302600_NS6detail15normal_iteratorINS9_10device_ptrIiEEEESE_iNS9_4plusIvEEiEEDaPvRmT3_T4_T5_mT6_P12ihipStream_tbENKUlT_T0_E_clISt17integral_constantIbLb1EEST_IbLb0EEEEDaSP_SQ_EUlSP_E0_NS1_11comp_targetILNS1_3genE10ELNS1_11target_archE1200ELNS1_3gpuE4ELNS1_3repE0EEENS1_30default_config_static_selectorELNS0_4arch9wavefront6targetE0EEEvT1_,"axG",@progbits,_ZN7rocprim17ROCPRIM_400000_NS6detail17trampoline_kernelINS0_14default_configENS1_20scan_config_selectorIiEEZZNS1_9scan_implILNS1_25lookback_scan_determinismE0ELb0ELb0ES3_N6thrust23THRUST_200600_302600_NS6detail15normal_iteratorINS9_10device_ptrIiEEEESE_iNS9_4plusIvEEiEEDaPvRmT3_T4_T5_mT6_P12ihipStream_tbENKUlT_T0_E_clISt17integral_constantIbLb1EEST_IbLb0EEEEDaSP_SQ_EUlSP_E0_NS1_11comp_targetILNS1_3genE10ELNS1_11target_archE1200ELNS1_3gpuE4ELNS1_3repE0EEENS1_30default_config_static_selectorELNS0_4arch9wavefront6targetE0EEEvT1_,comdat
.Lfunc_end64:
	.size	_ZN7rocprim17ROCPRIM_400000_NS6detail17trampoline_kernelINS0_14default_configENS1_20scan_config_selectorIiEEZZNS1_9scan_implILNS1_25lookback_scan_determinismE0ELb0ELb0ES3_N6thrust23THRUST_200600_302600_NS6detail15normal_iteratorINS9_10device_ptrIiEEEESE_iNS9_4plusIvEEiEEDaPvRmT3_T4_T5_mT6_P12ihipStream_tbENKUlT_T0_E_clISt17integral_constantIbLb1EEST_IbLb0EEEEDaSP_SQ_EUlSP_E0_NS1_11comp_targetILNS1_3genE10ELNS1_11target_archE1200ELNS1_3gpuE4ELNS1_3repE0EEENS1_30default_config_static_selectorELNS0_4arch9wavefront6targetE0EEEvT1_, .Lfunc_end64-_ZN7rocprim17ROCPRIM_400000_NS6detail17trampoline_kernelINS0_14default_configENS1_20scan_config_selectorIiEEZZNS1_9scan_implILNS1_25lookback_scan_determinismE0ELb0ELb0ES3_N6thrust23THRUST_200600_302600_NS6detail15normal_iteratorINS9_10device_ptrIiEEEESE_iNS9_4plusIvEEiEEDaPvRmT3_T4_T5_mT6_P12ihipStream_tbENKUlT_T0_E_clISt17integral_constantIbLb1EEST_IbLb0EEEEDaSP_SQ_EUlSP_E0_NS1_11comp_targetILNS1_3genE10ELNS1_11target_archE1200ELNS1_3gpuE4ELNS1_3repE0EEENS1_30default_config_static_selectorELNS0_4arch9wavefront6targetE0EEEvT1_
                                        ; -- End function
	.section	.AMDGPU.csdata,"",@progbits
; Kernel info:
; codeLenInByte = 0
; NumSgprs: 0
; NumVgprs: 0
; ScratchSize: 0
; MemoryBound: 0
; FloatMode: 240
; IeeeMode: 1
; LDSByteSize: 0 bytes/workgroup (compile time only)
; SGPRBlocks: 0
; VGPRBlocks: 0
; NumSGPRsForWavesPerEU: 1
; NumVGPRsForWavesPerEU: 1
; Occupancy: 16
; WaveLimiterHint : 0
; COMPUTE_PGM_RSRC2:SCRATCH_EN: 0
; COMPUTE_PGM_RSRC2:USER_SGPR: 15
; COMPUTE_PGM_RSRC2:TRAP_HANDLER: 0
; COMPUTE_PGM_RSRC2:TGID_X_EN: 1
; COMPUTE_PGM_RSRC2:TGID_Y_EN: 0
; COMPUTE_PGM_RSRC2:TGID_Z_EN: 0
; COMPUTE_PGM_RSRC2:TIDIG_COMP_CNT: 0
	.section	.text._ZN7rocprim17ROCPRIM_400000_NS6detail17trampoline_kernelINS0_14default_configENS1_20scan_config_selectorIiEEZZNS1_9scan_implILNS1_25lookback_scan_determinismE0ELb0ELb0ES3_N6thrust23THRUST_200600_302600_NS6detail15normal_iteratorINS9_10device_ptrIiEEEESE_iNS9_4plusIvEEiEEDaPvRmT3_T4_T5_mT6_P12ihipStream_tbENKUlT_T0_E_clISt17integral_constantIbLb1EEST_IbLb0EEEEDaSP_SQ_EUlSP_E0_NS1_11comp_targetILNS1_3genE9ELNS1_11target_archE1100ELNS1_3gpuE3ELNS1_3repE0EEENS1_30default_config_static_selectorELNS0_4arch9wavefront6targetE0EEEvT1_,"axG",@progbits,_ZN7rocprim17ROCPRIM_400000_NS6detail17trampoline_kernelINS0_14default_configENS1_20scan_config_selectorIiEEZZNS1_9scan_implILNS1_25lookback_scan_determinismE0ELb0ELb0ES3_N6thrust23THRUST_200600_302600_NS6detail15normal_iteratorINS9_10device_ptrIiEEEESE_iNS9_4plusIvEEiEEDaPvRmT3_T4_T5_mT6_P12ihipStream_tbENKUlT_T0_E_clISt17integral_constantIbLb1EEST_IbLb0EEEEDaSP_SQ_EUlSP_E0_NS1_11comp_targetILNS1_3genE9ELNS1_11target_archE1100ELNS1_3gpuE3ELNS1_3repE0EEENS1_30default_config_static_selectorELNS0_4arch9wavefront6targetE0EEEvT1_,comdat
	.protected	_ZN7rocprim17ROCPRIM_400000_NS6detail17trampoline_kernelINS0_14default_configENS1_20scan_config_selectorIiEEZZNS1_9scan_implILNS1_25lookback_scan_determinismE0ELb0ELb0ES3_N6thrust23THRUST_200600_302600_NS6detail15normal_iteratorINS9_10device_ptrIiEEEESE_iNS9_4plusIvEEiEEDaPvRmT3_T4_T5_mT6_P12ihipStream_tbENKUlT_T0_E_clISt17integral_constantIbLb1EEST_IbLb0EEEEDaSP_SQ_EUlSP_E0_NS1_11comp_targetILNS1_3genE9ELNS1_11target_archE1100ELNS1_3gpuE3ELNS1_3repE0EEENS1_30default_config_static_selectorELNS0_4arch9wavefront6targetE0EEEvT1_ ; -- Begin function _ZN7rocprim17ROCPRIM_400000_NS6detail17trampoline_kernelINS0_14default_configENS1_20scan_config_selectorIiEEZZNS1_9scan_implILNS1_25lookback_scan_determinismE0ELb0ELb0ES3_N6thrust23THRUST_200600_302600_NS6detail15normal_iteratorINS9_10device_ptrIiEEEESE_iNS9_4plusIvEEiEEDaPvRmT3_T4_T5_mT6_P12ihipStream_tbENKUlT_T0_E_clISt17integral_constantIbLb1EEST_IbLb0EEEEDaSP_SQ_EUlSP_E0_NS1_11comp_targetILNS1_3genE9ELNS1_11target_archE1100ELNS1_3gpuE3ELNS1_3repE0EEENS1_30default_config_static_selectorELNS0_4arch9wavefront6targetE0EEEvT1_
	.globl	_ZN7rocprim17ROCPRIM_400000_NS6detail17trampoline_kernelINS0_14default_configENS1_20scan_config_selectorIiEEZZNS1_9scan_implILNS1_25lookback_scan_determinismE0ELb0ELb0ES3_N6thrust23THRUST_200600_302600_NS6detail15normal_iteratorINS9_10device_ptrIiEEEESE_iNS9_4plusIvEEiEEDaPvRmT3_T4_T5_mT6_P12ihipStream_tbENKUlT_T0_E_clISt17integral_constantIbLb1EEST_IbLb0EEEEDaSP_SQ_EUlSP_E0_NS1_11comp_targetILNS1_3genE9ELNS1_11target_archE1100ELNS1_3gpuE3ELNS1_3repE0EEENS1_30default_config_static_selectorELNS0_4arch9wavefront6targetE0EEEvT1_
	.p2align	8
	.type	_ZN7rocprim17ROCPRIM_400000_NS6detail17trampoline_kernelINS0_14default_configENS1_20scan_config_selectorIiEEZZNS1_9scan_implILNS1_25lookback_scan_determinismE0ELb0ELb0ES3_N6thrust23THRUST_200600_302600_NS6detail15normal_iteratorINS9_10device_ptrIiEEEESE_iNS9_4plusIvEEiEEDaPvRmT3_T4_T5_mT6_P12ihipStream_tbENKUlT_T0_E_clISt17integral_constantIbLb1EEST_IbLb0EEEEDaSP_SQ_EUlSP_E0_NS1_11comp_targetILNS1_3genE9ELNS1_11target_archE1100ELNS1_3gpuE3ELNS1_3repE0EEENS1_30default_config_static_selectorELNS0_4arch9wavefront6targetE0EEEvT1_,@function
_ZN7rocprim17ROCPRIM_400000_NS6detail17trampoline_kernelINS0_14default_configENS1_20scan_config_selectorIiEEZZNS1_9scan_implILNS1_25lookback_scan_determinismE0ELb0ELb0ES3_N6thrust23THRUST_200600_302600_NS6detail15normal_iteratorINS9_10device_ptrIiEEEESE_iNS9_4plusIvEEiEEDaPvRmT3_T4_T5_mT6_P12ihipStream_tbENKUlT_T0_E_clISt17integral_constantIbLb1EEST_IbLb0EEEEDaSP_SQ_EUlSP_E0_NS1_11comp_targetILNS1_3genE9ELNS1_11target_archE1100ELNS1_3gpuE3ELNS1_3repE0EEENS1_30default_config_static_selectorELNS0_4arch9wavefront6targetE0EEEvT1_: ; @_ZN7rocprim17ROCPRIM_400000_NS6detail17trampoline_kernelINS0_14default_configENS1_20scan_config_selectorIiEEZZNS1_9scan_implILNS1_25lookback_scan_determinismE0ELb0ELb0ES3_N6thrust23THRUST_200600_302600_NS6detail15normal_iteratorINS9_10device_ptrIiEEEESE_iNS9_4plusIvEEiEEDaPvRmT3_T4_T5_mT6_P12ihipStream_tbENKUlT_T0_E_clISt17integral_constantIbLb1EEST_IbLb0EEEEDaSP_SQ_EUlSP_E0_NS1_11comp_targetILNS1_3genE9ELNS1_11target_archE1100ELNS1_3gpuE3ELNS1_3repE0EEENS1_30default_config_static_selectorELNS0_4arch9wavefront6targetE0EEEvT1_
; %bb.0:
	s_load_b128 s[8:11], s[0:1], 0x0
	v_lshlrev_b32_e32 v5, 2, v0
	s_waitcnt lgkmcnt(0)
	s_load_b32 s4, s[8:9], 0x0
	v_cmp_gt_u32_e32 vcc_lo, s10, v0
	s_waitcnt lgkmcnt(0)
	s_mov_b32 s5, s4
	s_mov_b32 s6, s4
	;; [unrolled: 1-line block ×3, first 2 shown]
	s_delay_alu instid0(SALU_CYCLE_1)
	v_dual_mov_b32 v1, s4 :: v_dual_mov_b32 v4, s7
	v_dual_mov_b32 v11, s4 :: v_dual_mov_b32 v2, s5
	v_mov_b32_e32 v3, s6
	s_and_saveexec_b32 s2, vcc_lo
	s_cbranch_execz .LBB65_2
; %bb.1:
	global_load_b32 v11, v5, s[8:9]
	v_dual_mov_b32 v1, s4 :: v_dual_mov_b32 v2, s5
	v_dual_mov_b32 v3, s6 :: v_dual_mov_b32 v4, s7
                                        ; kill: def $vgpr1 killed $vgpr11 killed $exec
.LBB65_2:
	s_or_b32 exec_lo, exec_lo, s2
	v_or_b32_e32 v1, 0x100, v0
	s_delay_alu instid0(VALU_DEP_1) | instskip(NEXT) | instid1(VALU_DEP_1)
	v_cmp_gt_u32_e64 s2, s10, v1
	s_and_saveexec_b32 s3, s2
	s_cbranch_execz .LBB65_4
; %bb.3:
	global_load_b32 v2, v5, s[8:9] offset:1024
.LBB65_4:
	s_or_b32 exec_lo, exec_lo, s3
	v_or_b32_e32 v6, 0x200, v0
	s_delay_alu instid0(VALU_DEP_1) | instskip(NEXT) | instid1(VALU_DEP_1)
	v_cmp_gt_u32_e64 s3, s10, v6
	s_and_saveexec_b32 s4, s3
	s_cbranch_execz .LBB65_6
; %bb.5:
	global_load_b32 v3, v5, s[8:9] offset:2048
.LBB65_6:
	;; [unrolled: 9-line block ×3, first 2 shown]
	s_or_b32 exec_lo, exec_lo, s5
	v_lshrrev_b32_e32 v10, 3, v0
	v_lshrrev_b32_e32 v1, 3, v1
	v_lshrrev_b32_e32 v6, 3, v6
	v_lshrrev_b32_e32 v7, 3, v7
	s_mov_b32 s6, exec_lo
	v_and_b32_e32 v8, 28, v10
	v_and_b32_e32 v1, 60, v1
	;; [unrolled: 1-line block ×4, first 2 shown]
	v_add_lshl_u32 v10, v10, v5, 2
	v_add_nc_u32_e32 v6, v8, v5
	v_add_nc_u32_e32 v7, v1, v5
	;; [unrolled: 1-line block ×4, first 2 shown]
	s_waitcnt vmcnt(0)
	ds_store_b32 v6, v11
	ds_store_b32 v7, v2 offset:1024
	ds_store_b32 v8, v3 offset:2048
	;; [unrolled: 1-line block ×3, first 2 shown]
	s_waitcnt lgkmcnt(0)
	s_barrier
	buffer_gl0_inv
	ds_load_2addr_b32 v[1:2], v10 offset1:1
	ds_load_2addr_b32 v[3:4], v10 offset0:2 offset1:3
	s_waitcnt lgkmcnt(0)
	s_barrier
	buffer_gl0_inv
	v_add_nc_u32_e32 v11, v2, v1
	s_delay_alu instid0(VALU_DEP_1) | instskip(NEXT) | instid1(VALU_DEP_1)
	v_add_nc_u32_e32 v12, v11, v3
	v_add_nc_u32_e32 v13, v12, v4
	ds_store_b32 v6, v13
	s_waitcnt lgkmcnt(0)
	s_barrier
	buffer_gl0_inv
	v_cmpx_gt_u32_e32 32, v0
	s_cbranch_execz .LBB65_10
; %bb.9:
	v_and_b32_e32 v14, 0xfc, v0
	s_delay_alu instid0(VALU_DEP_1)
	v_lshl_or_b32 v22, v0, 5, v14
	ds_load_2addr_b32 v[14:15], v22 offset1:1
	ds_load_2addr_b32 v[16:17], v22 offset0:2 offset1:3
	ds_load_2addr_b32 v[18:19], v22 offset0:4 offset1:5
	;; [unrolled: 1-line block ×3, first 2 shown]
	; wave barrier
	s_waitcnt lgkmcnt(3)
	v_add_nc_u32_e32 v15, v15, v14
	s_waitcnt lgkmcnt(2)
	s_delay_alu instid0(VALU_DEP_1) | instskip(SKIP_2) | instid1(VALU_DEP_2)
	v_add3_u32 v15, v15, v16, v17
	v_mbcnt_lo_u32_b32 v16, -1, 0
	s_waitcnt lgkmcnt(1)
	v_add3_u32 v15, v15, v18, v19
	s_delay_alu instid0(VALU_DEP_2) | instskip(SKIP_2) | instid1(VALU_DEP_3)
	v_and_b32_e32 v17, 15, v16
	v_bfe_i32 v19, v16, 4, 1
	s_waitcnt lgkmcnt(0)
	v_add3_u32 v15, v15, v20, v21
	s_delay_alu instid0(VALU_DEP_3) | instskip(NEXT) | instid1(VALU_DEP_2)
	v_cmp_ne_u32_e64 s5, 0, v17
	v_mov_b32_dpp v18, v15 row_shr:1 row_mask:0xf bank_mask:0xf
	s_delay_alu instid0(VALU_DEP_1) | instskip(SKIP_1) | instid1(VALU_DEP_2)
	v_cndmask_b32_e64 v18, 0, v18, s5
	v_cmp_lt_u32_e64 s5, 1, v17
	v_add_nc_u32_e32 v15, v18, v15
	s_delay_alu instid0(VALU_DEP_1) | instskip(NEXT) | instid1(VALU_DEP_1)
	v_mov_b32_dpp v18, v15 row_shr:2 row_mask:0xf bank_mask:0xf
	v_cndmask_b32_e64 v18, 0, v18, s5
	v_cmp_lt_u32_e64 s5, 3, v17
	s_delay_alu instid0(VALU_DEP_2) | instskip(NEXT) | instid1(VALU_DEP_1)
	v_add_nc_u32_e32 v15, v15, v18
	v_mov_b32_dpp v18, v15 row_shr:4 row_mask:0xf bank_mask:0xf
	s_delay_alu instid0(VALU_DEP_1) | instskip(SKIP_1) | instid1(VALU_DEP_2)
	v_cndmask_b32_e64 v18, 0, v18, s5
	v_cmp_lt_u32_e64 s5, 7, v17
	v_add_nc_u32_e32 v15, v15, v18
	s_delay_alu instid0(VALU_DEP_1) | instskip(NEXT) | instid1(VALU_DEP_1)
	v_mov_b32_dpp v18, v15 row_shr:8 row_mask:0xf bank_mask:0xf
	v_cndmask_b32_e64 v17, 0, v18, s5
	v_add_nc_u32_e32 v18, -1, v16
	s_delay_alu instid0(VALU_DEP_2) | instskip(NEXT) | instid1(VALU_DEP_2)
	v_add_nc_u32_e32 v15, v15, v17
	v_cmp_gt_i32_e64 s5, 0, v18
	ds_swizzle_b32 v17, v15 offset:swizzle(BROADCAST,32,15)
	v_cndmask_b32_e64 v16, v18, v16, s5
	v_cmp_eq_u32_e64 s5, 0, v0
	s_delay_alu instid0(VALU_DEP_2) | instskip(SKIP_2) | instid1(VALU_DEP_1)
	v_lshlrev_b32_e32 v16, 2, v16
	s_waitcnt lgkmcnt(0)
	v_and_b32_e32 v17, v19, v17
	v_add_nc_u32_e32 v15, v15, v17
	ds_bpermute_b32 v15, v16, v15
	s_waitcnt lgkmcnt(0)
	v_add_nc_u32_e32 v14, v15, v14
	s_delay_alu instid0(VALU_DEP_1)
	v_cndmask_b32_e64 v20, v14, v13, s5
	ds_store_b32 v22, v20
	; wave barrier
	ds_load_2addr_b32 v[14:15], v22 offset0:1 offset1:2
	ds_load_2addr_b32 v[16:17], v22 offset0:3 offset1:4
	;; [unrolled: 1-line block ×3, first 2 shown]
	ds_load_b32 v21, v22 offset:28
	s_waitcnt lgkmcnt(3)
	v_add_nc_u32_e32 v14, v14, v20
	s_delay_alu instid0(VALU_DEP_1) | instskip(SKIP_1) | instid1(VALU_DEP_1)
	v_add_nc_u32_e32 v15, v15, v14
	s_waitcnt lgkmcnt(2)
	v_add_nc_u32_e32 v16, v16, v15
	s_delay_alu instid0(VALU_DEP_1) | instskip(SKIP_1) | instid1(VALU_DEP_1)
	v_add_nc_u32_e32 v17, v17, v16
	;; [unrolled: 4-line block ×3, first 2 shown]
	s_waitcnt lgkmcnt(0)
	v_add_nc_u32_e32 v20, v21, v19
	ds_store_2addr_b32 v22, v14, v15 offset0:1 offset1:2
	ds_store_2addr_b32 v22, v16, v17 offset0:3 offset1:4
	;; [unrolled: 1-line block ×3, first 2 shown]
	ds_store_b32 v22, v20 offset:28
.LBB65_10:
	s_or_b32 exec_lo, exec_lo, s6
	s_load_b64 s[6:7], s[0:1], 0x18
	v_cmp_ne_u32_e64 s0, 0, v0
	v_mov_b32_e32 v14, v13
	s_waitcnt lgkmcnt(0)
	s_barrier
	buffer_gl0_inv
	s_and_saveexec_b32 s1, s0
	s_cbranch_execz .LBB65_12
; %bb.11:
	v_add_nc_u32_e32 v0, -1, v0
	s_delay_alu instid0(VALU_DEP_1) | instskip(NEXT) | instid1(VALU_DEP_1)
	v_lshrrev_b32_e32 v14, 5, v0
	v_add_lshl_u32 v0, v14, v0, 2
	ds_load_b32 v14, v0
.LBB65_12:
	s_or_b32 exec_lo, exec_lo, s1
	s_and_saveexec_b32 s1, s0
	s_cbranch_execz .LBB65_14
; %bb.13:
	s_waitcnt lgkmcnt(0)
	v_add_nc_u32_e32 v1, v14, v1
	;;#ASMSTART
	;;#ASMEND
	s_delay_alu instid0(VALU_DEP_1) | instskip(NEXT) | instid1(VALU_DEP_1)
	v_add_nc_u32_e32 v11, v1, v2
	v_add_nc_u32_e32 v12, v11, v3
	s_delay_alu instid0(VALU_DEP_1)
	v_add_nc_u32_e32 v13, v12, v4
.LBB65_14:
	s_or_b32 exec_lo, exec_lo, s1
	s_waitcnt lgkmcnt(0)
	s_barrier
	buffer_gl0_inv
	ds_store_2addr_b32 v10, v1, v11 offset1:1
	ds_store_2addr_b32 v10, v12, v13 offset0:2 offset1:3
	s_waitcnt lgkmcnt(0)
	s_barrier
	buffer_gl0_inv
	ds_load_b32 v4, v7 offset:1024
	ds_load_b32 v3, v8 offset:2048
	;; [unrolled: 1-line block ×3, first 2 shown]
	v_add_co_u32 v0, s0, s6, v5
	s_delay_alu instid0(VALU_DEP_1)
	v_add_co_ci_u32_e64 v1, null, s7, 0, s0
	s_and_saveexec_b32 s0, vcc_lo
	s_cbranch_execnz .LBB65_19
; %bb.15:
	s_or_b32 exec_lo, exec_lo, s0
	s_and_saveexec_b32 s0, s2
	s_cbranch_execnz .LBB65_20
.LBB65_16:
	s_or_b32 exec_lo, exec_lo, s0
	s_and_saveexec_b32 s0, s3
	s_cbranch_execnz .LBB65_21
.LBB65_17:
	s_or_b32 exec_lo, exec_lo, s0
	s_and_saveexec_b32 s0, s4
	s_cbranch_execnz .LBB65_22
.LBB65_18:
	s_nop 0
	s_sendmsg sendmsg(MSG_DEALLOC_VGPRS)
	s_endpgm
.LBB65_19:
	ds_load_b32 v5, v6
	s_waitcnt lgkmcnt(0)
	global_store_b32 v[0:1], v5, off
	s_or_b32 exec_lo, exec_lo, s0
	s_and_saveexec_b32 s0, s2
	s_cbranch_execz .LBB65_16
.LBB65_20:
	s_waitcnt lgkmcnt(2)
	global_store_b32 v[0:1], v4, off offset:1024
	s_or_b32 exec_lo, exec_lo, s0
	s_and_saveexec_b32 s0, s3
	s_cbranch_execz .LBB65_17
.LBB65_21:
	s_waitcnt lgkmcnt(1)
	global_store_b32 v[0:1], v3, off offset:2048
	s_or_b32 exec_lo, exec_lo, s0
	s_and_saveexec_b32 s0, s4
	s_cbranch_execz .LBB65_18
.LBB65_22:
	s_waitcnt lgkmcnt(0)
	global_store_b32 v[0:1], v2, off offset:3072
	s_nop 0
	s_sendmsg sendmsg(MSG_DEALLOC_VGPRS)
	s_endpgm
	.section	.rodata,"a",@progbits
	.p2align	6, 0x0
	.amdhsa_kernel _ZN7rocprim17ROCPRIM_400000_NS6detail17trampoline_kernelINS0_14default_configENS1_20scan_config_selectorIiEEZZNS1_9scan_implILNS1_25lookback_scan_determinismE0ELb0ELb0ES3_N6thrust23THRUST_200600_302600_NS6detail15normal_iteratorINS9_10device_ptrIiEEEESE_iNS9_4plusIvEEiEEDaPvRmT3_T4_T5_mT6_P12ihipStream_tbENKUlT_T0_E_clISt17integral_constantIbLb1EEST_IbLb0EEEEDaSP_SQ_EUlSP_E0_NS1_11comp_targetILNS1_3genE9ELNS1_11target_archE1100ELNS1_3gpuE3ELNS1_3repE0EEENS1_30default_config_static_selectorELNS0_4arch9wavefront6targetE0EEEvT1_
		.amdhsa_group_segment_fixed_size 4224
		.amdhsa_private_segment_fixed_size 0
		.amdhsa_kernarg_size 32
		.amdhsa_user_sgpr_count 15
		.amdhsa_user_sgpr_dispatch_ptr 0
		.amdhsa_user_sgpr_queue_ptr 0
		.amdhsa_user_sgpr_kernarg_segment_ptr 1
		.amdhsa_user_sgpr_dispatch_id 0
		.amdhsa_user_sgpr_private_segment_size 0
		.amdhsa_wavefront_size32 1
		.amdhsa_uses_dynamic_stack 0
		.amdhsa_enable_private_segment 0
		.amdhsa_system_sgpr_workgroup_id_x 1
		.amdhsa_system_sgpr_workgroup_id_y 0
		.amdhsa_system_sgpr_workgroup_id_z 0
		.amdhsa_system_sgpr_workgroup_info 0
		.amdhsa_system_vgpr_workitem_id 0
		.amdhsa_next_free_vgpr 23
		.amdhsa_next_free_sgpr 12
		.amdhsa_reserve_vcc 1
		.amdhsa_float_round_mode_32 0
		.amdhsa_float_round_mode_16_64 0
		.amdhsa_float_denorm_mode_32 3
		.amdhsa_float_denorm_mode_16_64 3
		.amdhsa_dx10_clamp 1
		.amdhsa_ieee_mode 1
		.amdhsa_fp16_overflow 0
		.amdhsa_workgroup_processor_mode 1
		.amdhsa_memory_ordered 1
		.amdhsa_forward_progress 0
		.amdhsa_shared_vgpr_count 0
		.amdhsa_exception_fp_ieee_invalid_op 0
		.amdhsa_exception_fp_denorm_src 0
		.amdhsa_exception_fp_ieee_div_zero 0
		.amdhsa_exception_fp_ieee_overflow 0
		.amdhsa_exception_fp_ieee_underflow 0
		.amdhsa_exception_fp_ieee_inexact 0
		.amdhsa_exception_int_div_zero 0
	.end_amdhsa_kernel
	.section	.text._ZN7rocprim17ROCPRIM_400000_NS6detail17trampoline_kernelINS0_14default_configENS1_20scan_config_selectorIiEEZZNS1_9scan_implILNS1_25lookback_scan_determinismE0ELb0ELb0ES3_N6thrust23THRUST_200600_302600_NS6detail15normal_iteratorINS9_10device_ptrIiEEEESE_iNS9_4plusIvEEiEEDaPvRmT3_T4_T5_mT6_P12ihipStream_tbENKUlT_T0_E_clISt17integral_constantIbLb1EEST_IbLb0EEEEDaSP_SQ_EUlSP_E0_NS1_11comp_targetILNS1_3genE9ELNS1_11target_archE1100ELNS1_3gpuE3ELNS1_3repE0EEENS1_30default_config_static_selectorELNS0_4arch9wavefront6targetE0EEEvT1_,"axG",@progbits,_ZN7rocprim17ROCPRIM_400000_NS6detail17trampoline_kernelINS0_14default_configENS1_20scan_config_selectorIiEEZZNS1_9scan_implILNS1_25lookback_scan_determinismE0ELb0ELb0ES3_N6thrust23THRUST_200600_302600_NS6detail15normal_iteratorINS9_10device_ptrIiEEEESE_iNS9_4plusIvEEiEEDaPvRmT3_T4_T5_mT6_P12ihipStream_tbENKUlT_T0_E_clISt17integral_constantIbLb1EEST_IbLb0EEEEDaSP_SQ_EUlSP_E0_NS1_11comp_targetILNS1_3genE9ELNS1_11target_archE1100ELNS1_3gpuE3ELNS1_3repE0EEENS1_30default_config_static_selectorELNS0_4arch9wavefront6targetE0EEEvT1_,comdat
.Lfunc_end65:
	.size	_ZN7rocprim17ROCPRIM_400000_NS6detail17trampoline_kernelINS0_14default_configENS1_20scan_config_selectorIiEEZZNS1_9scan_implILNS1_25lookback_scan_determinismE0ELb0ELb0ES3_N6thrust23THRUST_200600_302600_NS6detail15normal_iteratorINS9_10device_ptrIiEEEESE_iNS9_4plusIvEEiEEDaPvRmT3_T4_T5_mT6_P12ihipStream_tbENKUlT_T0_E_clISt17integral_constantIbLb1EEST_IbLb0EEEEDaSP_SQ_EUlSP_E0_NS1_11comp_targetILNS1_3genE9ELNS1_11target_archE1100ELNS1_3gpuE3ELNS1_3repE0EEENS1_30default_config_static_selectorELNS0_4arch9wavefront6targetE0EEEvT1_, .Lfunc_end65-_ZN7rocprim17ROCPRIM_400000_NS6detail17trampoline_kernelINS0_14default_configENS1_20scan_config_selectorIiEEZZNS1_9scan_implILNS1_25lookback_scan_determinismE0ELb0ELb0ES3_N6thrust23THRUST_200600_302600_NS6detail15normal_iteratorINS9_10device_ptrIiEEEESE_iNS9_4plusIvEEiEEDaPvRmT3_T4_T5_mT6_P12ihipStream_tbENKUlT_T0_E_clISt17integral_constantIbLb1EEST_IbLb0EEEEDaSP_SQ_EUlSP_E0_NS1_11comp_targetILNS1_3genE9ELNS1_11target_archE1100ELNS1_3gpuE3ELNS1_3repE0EEENS1_30default_config_static_selectorELNS0_4arch9wavefront6targetE0EEEvT1_
                                        ; -- End function
	.section	.AMDGPU.csdata,"",@progbits
; Kernel info:
; codeLenInByte = 1272
; NumSgprs: 14
; NumVgprs: 23
; ScratchSize: 0
; MemoryBound: 0
; FloatMode: 240
; IeeeMode: 1
; LDSByteSize: 4224 bytes/workgroup (compile time only)
; SGPRBlocks: 1
; VGPRBlocks: 2
; NumSGPRsForWavesPerEU: 14
; NumVGPRsForWavesPerEU: 23
; Occupancy: 16
; WaveLimiterHint : 0
; COMPUTE_PGM_RSRC2:SCRATCH_EN: 0
; COMPUTE_PGM_RSRC2:USER_SGPR: 15
; COMPUTE_PGM_RSRC2:TRAP_HANDLER: 0
; COMPUTE_PGM_RSRC2:TGID_X_EN: 1
; COMPUTE_PGM_RSRC2:TGID_Y_EN: 0
; COMPUTE_PGM_RSRC2:TGID_Z_EN: 0
; COMPUTE_PGM_RSRC2:TIDIG_COMP_CNT: 0
	.section	.text._ZN7rocprim17ROCPRIM_400000_NS6detail17trampoline_kernelINS0_14default_configENS1_20scan_config_selectorIiEEZZNS1_9scan_implILNS1_25lookback_scan_determinismE0ELb0ELb0ES3_N6thrust23THRUST_200600_302600_NS6detail15normal_iteratorINS9_10device_ptrIiEEEESE_iNS9_4plusIvEEiEEDaPvRmT3_T4_T5_mT6_P12ihipStream_tbENKUlT_T0_E_clISt17integral_constantIbLb1EEST_IbLb0EEEEDaSP_SQ_EUlSP_E0_NS1_11comp_targetILNS1_3genE8ELNS1_11target_archE1030ELNS1_3gpuE2ELNS1_3repE0EEENS1_30default_config_static_selectorELNS0_4arch9wavefront6targetE0EEEvT1_,"axG",@progbits,_ZN7rocprim17ROCPRIM_400000_NS6detail17trampoline_kernelINS0_14default_configENS1_20scan_config_selectorIiEEZZNS1_9scan_implILNS1_25lookback_scan_determinismE0ELb0ELb0ES3_N6thrust23THRUST_200600_302600_NS6detail15normal_iteratorINS9_10device_ptrIiEEEESE_iNS9_4plusIvEEiEEDaPvRmT3_T4_T5_mT6_P12ihipStream_tbENKUlT_T0_E_clISt17integral_constantIbLb1EEST_IbLb0EEEEDaSP_SQ_EUlSP_E0_NS1_11comp_targetILNS1_3genE8ELNS1_11target_archE1030ELNS1_3gpuE2ELNS1_3repE0EEENS1_30default_config_static_selectorELNS0_4arch9wavefront6targetE0EEEvT1_,comdat
	.protected	_ZN7rocprim17ROCPRIM_400000_NS6detail17trampoline_kernelINS0_14default_configENS1_20scan_config_selectorIiEEZZNS1_9scan_implILNS1_25lookback_scan_determinismE0ELb0ELb0ES3_N6thrust23THRUST_200600_302600_NS6detail15normal_iteratorINS9_10device_ptrIiEEEESE_iNS9_4plusIvEEiEEDaPvRmT3_T4_T5_mT6_P12ihipStream_tbENKUlT_T0_E_clISt17integral_constantIbLb1EEST_IbLb0EEEEDaSP_SQ_EUlSP_E0_NS1_11comp_targetILNS1_3genE8ELNS1_11target_archE1030ELNS1_3gpuE2ELNS1_3repE0EEENS1_30default_config_static_selectorELNS0_4arch9wavefront6targetE0EEEvT1_ ; -- Begin function _ZN7rocprim17ROCPRIM_400000_NS6detail17trampoline_kernelINS0_14default_configENS1_20scan_config_selectorIiEEZZNS1_9scan_implILNS1_25lookback_scan_determinismE0ELb0ELb0ES3_N6thrust23THRUST_200600_302600_NS6detail15normal_iteratorINS9_10device_ptrIiEEEESE_iNS9_4plusIvEEiEEDaPvRmT3_T4_T5_mT6_P12ihipStream_tbENKUlT_T0_E_clISt17integral_constantIbLb1EEST_IbLb0EEEEDaSP_SQ_EUlSP_E0_NS1_11comp_targetILNS1_3genE8ELNS1_11target_archE1030ELNS1_3gpuE2ELNS1_3repE0EEENS1_30default_config_static_selectorELNS0_4arch9wavefront6targetE0EEEvT1_
	.globl	_ZN7rocprim17ROCPRIM_400000_NS6detail17trampoline_kernelINS0_14default_configENS1_20scan_config_selectorIiEEZZNS1_9scan_implILNS1_25lookback_scan_determinismE0ELb0ELb0ES3_N6thrust23THRUST_200600_302600_NS6detail15normal_iteratorINS9_10device_ptrIiEEEESE_iNS9_4plusIvEEiEEDaPvRmT3_T4_T5_mT6_P12ihipStream_tbENKUlT_T0_E_clISt17integral_constantIbLb1EEST_IbLb0EEEEDaSP_SQ_EUlSP_E0_NS1_11comp_targetILNS1_3genE8ELNS1_11target_archE1030ELNS1_3gpuE2ELNS1_3repE0EEENS1_30default_config_static_selectorELNS0_4arch9wavefront6targetE0EEEvT1_
	.p2align	8
	.type	_ZN7rocprim17ROCPRIM_400000_NS6detail17trampoline_kernelINS0_14default_configENS1_20scan_config_selectorIiEEZZNS1_9scan_implILNS1_25lookback_scan_determinismE0ELb0ELb0ES3_N6thrust23THRUST_200600_302600_NS6detail15normal_iteratorINS9_10device_ptrIiEEEESE_iNS9_4plusIvEEiEEDaPvRmT3_T4_T5_mT6_P12ihipStream_tbENKUlT_T0_E_clISt17integral_constantIbLb1EEST_IbLb0EEEEDaSP_SQ_EUlSP_E0_NS1_11comp_targetILNS1_3genE8ELNS1_11target_archE1030ELNS1_3gpuE2ELNS1_3repE0EEENS1_30default_config_static_selectorELNS0_4arch9wavefront6targetE0EEEvT1_,@function
_ZN7rocprim17ROCPRIM_400000_NS6detail17trampoline_kernelINS0_14default_configENS1_20scan_config_selectorIiEEZZNS1_9scan_implILNS1_25lookback_scan_determinismE0ELb0ELb0ES3_N6thrust23THRUST_200600_302600_NS6detail15normal_iteratorINS9_10device_ptrIiEEEESE_iNS9_4plusIvEEiEEDaPvRmT3_T4_T5_mT6_P12ihipStream_tbENKUlT_T0_E_clISt17integral_constantIbLb1EEST_IbLb0EEEEDaSP_SQ_EUlSP_E0_NS1_11comp_targetILNS1_3genE8ELNS1_11target_archE1030ELNS1_3gpuE2ELNS1_3repE0EEENS1_30default_config_static_selectorELNS0_4arch9wavefront6targetE0EEEvT1_: ; @_ZN7rocprim17ROCPRIM_400000_NS6detail17trampoline_kernelINS0_14default_configENS1_20scan_config_selectorIiEEZZNS1_9scan_implILNS1_25lookback_scan_determinismE0ELb0ELb0ES3_N6thrust23THRUST_200600_302600_NS6detail15normal_iteratorINS9_10device_ptrIiEEEESE_iNS9_4plusIvEEiEEDaPvRmT3_T4_T5_mT6_P12ihipStream_tbENKUlT_T0_E_clISt17integral_constantIbLb1EEST_IbLb0EEEEDaSP_SQ_EUlSP_E0_NS1_11comp_targetILNS1_3genE8ELNS1_11target_archE1030ELNS1_3gpuE2ELNS1_3repE0EEENS1_30default_config_static_selectorELNS0_4arch9wavefront6targetE0EEEvT1_
; %bb.0:
	.section	.rodata,"a",@progbits
	.p2align	6, 0x0
	.amdhsa_kernel _ZN7rocprim17ROCPRIM_400000_NS6detail17trampoline_kernelINS0_14default_configENS1_20scan_config_selectorIiEEZZNS1_9scan_implILNS1_25lookback_scan_determinismE0ELb0ELb0ES3_N6thrust23THRUST_200600_302600_NS6detail15normal_iteratorINS9_10device_ptrIiEEEESE_iNS9_4plusIvEEiEEDaPvRmT3_T4_T5_mT6_P12ihipStream_tbENKUlT_T0_E_clISt17integral_constantIbLb1EEST_IbLb0EEEEDaSP_SQ_EUlSP_E0_NS1_11comp_targetILNS1_3genE8ELNS1_11target_archE1030ELNS1_3gpuE2ELNS1_3repE0EEENS1_30default_config_static_selectorELNS0_4arch9wavefront6targetE0EEEvT1_
		.amdhsa_group_segment_fixed_size 0
		.amdhsa_private_segment_fixed_size 0
		.amdhsa_kernarg_size 32
		.amdhsa_user_sgpr_count 15
		.amdhsa_user_sgpr_dispatch_ptr 0
		.amdhsa_user_sgpr_queue_ptr 0
		.amdhsa_user_sgpr_kernarg_segment_ptr 1
		.amdhsa_user_sgpr_dispatch_id 0
		.amdhsa_user_sgpr_private_segment_size 0
		.amdhsa_wavefront_size32 1
		.amdhsa_uses_dynamic_stack 0
		.amdhsa_enable_private_segment 0
		.amdhsa_system_sgpr_workgroup_id_x 1
		.amdhsa_system_sgpr_workgroup_id_y 0
		.amdhsa_system_sgpr_workgroup_id_z 0
		.amdhsa_system_sgpr_workgroup_info 0
		.amdhsa_system_vgpr_workitem_id 0
		.amdhsa_next_free_vgpr 1
		.amdhsa_next_free_sgpr 1
		.amdhsa_reserve_vcc 0
		.amdhsa_float_round_mode_32 0
		.amdhsa_float_round_mode_16_64 0
		.amdhsa_float_denorm_mode_32 3
		.amdhsa_float_denorm_mode_16_64 3
		.amdhsa_dx10_clamp 1
		.amdhsa_ieee_mode 1
		.amdhsa_fp16_overflow 0
		.amdhsa_workgroup_processor_mode 1
		.amdhsa_memory_ordered 1
		.amdhsa_forward_progress 0
		.amdhsa_shared_vgpr_count 0
		.amdhsa_exception_fp_ieee_invalid_op 0
		.amdhsa_exception_fp_denorm_src 0
		.amdhsa_exception_fp_ieee_div_zero 0
		.amdhsa_exception_fp_ieee_overflow 0
		.amdhsa_exception_fp_ieee_underflow 0
		.amdhsa_exception_fp_ieee_inexact 0
		.amdhsa_exception_int_div_zero 0
	.end_amdhsa_kernel
	.section	.text._ZN7rocprim17ROCPRIM_400000_NS6detail17trampoline_kernelINS0_14default_configENS1_20scan_config_selectorIiEEZZNS1_9scan_implILNS1_25lookback_scan_determinismE0ELb0ELb0ES3_N6thrust23THRUST_200600_302600_NS6detail15normal_iteratorINS9_10device_ptrIiEEEESE_iNS9_4plusIvEEiEEDaPvRmT3_T4_T5_mT6_P12ihipStream_tbENKUlT_T0_E_clISt17integral_constantIbLb1EEST_IbLb0EEEEDaSP_SQ_EUlSP_E0_NS1_11comp_targetILNS1_3genE8ELNS1_11target_archE1030ELNS1_3gpuE2ELNS1_3repE0EEENS1_30default_config_static_selectorELNS0_4arch9wavefront6targetE0EEEvT1_,"axG",@progbits,_ZN7rocprim17ROCPRIM_400000_NS6detail17trampoline_kernelINS0_14default_configENS1_20scan_config_selectorIiEEZZNS1_9scan_implILNS1_25lookback_scan_determinismE0ELb0ELb0ES3_N6thrust23THRUST_200600_302600_NS6detail15normal_iteratorINS9_10device_ptrIiEEEESE_iNS9_4plusIvEEiEEDaPvRmT3_T4_T5_mT6_P12ihipStream_tbENKUlT_T0_E_clISt17integral_constantIbLb1EEST_IbLb0EEEEDaSP_SQ_EUlSP_E0_NS1_11comp_targetILNS1_3genE8ELNS1_11target_archE1030ELNS1_3gpuE2ELNS1_3repE0EEENS1_30default_config_static_selectorELNS0_4arch9wavefront6targetE0EEEvT1_,comdat
.Lfunc_end66:
	.size	_ZN7rocprim17ROCPRIM_400000_NS6detail17trampoline_kernelINS0_14default_configENS1_20scan_config_selectorIiEEZZNS1_9scan_implILNS1_25lookback_scan_determinismE0ELb0ELb0ES3_N6thrust23THRUST_200600_302600_NS6detail15normal_iteratorINS9_10device_ptrIiEEEESE_iNS9_4plusIvEEiEEDaPvRmT3_T4_T5_mT6_P12ihipStream_tbENKUlT_T0_E_clISt17integral_constantIbLb1EEST_IbLb0EEEEDaSP_SQ_EUlSP_E0_NS1_11comp_targetILNS1_3genE8ELNS1_11target_archE1030ELNS1_3gpuE2ELNS1_3repE0EEENS1_30default_config_static_selectorELNS0_4arch9wavefront6targetE0EEEvT1_, .Lfunc_end66-_ZN7rocprim17ROCPRIM_400000_NS6detail17trampoline_kernelINS0_14default_configENS1_20scan_config_selectorIiEEZZNS1_9scan_implILNS1_25lookback_scan_determinismE0ELb0ELb0ES3_N6thrust23THRUST_200600_302600_NS6detail15normal_iteratorINS9_10device_ptrIiEEEESE_iNS9_4plusIvEEiEEDaPvRmT3_T4_T5_mT6_P12ihipStream_tbENKUlT_T0_E_clISt17integral_constantIbLb1EEST_IbLb0EEEEDaSP_SQ_EUlSP_E0_NS1_11comp_targetILNS1_3genE8ELNS1_11target_archE1030ELNS1_3gpuE2ELNS1_3repE0EEENS1_30default_config_static_selectorELNS0_4arch9wavefront6targetE0EEEvT1_
                                        ; -- End function
	.section	.AMDGPU.csdata,"",@progbits
; Kernel info:
; codeLenInByte = 0
; NumSgprs: 0
; NumVgprs: 0
; ScratchSize: 0
; MemoryBound: 0
; FloatMode: 240
; IeeeMode: 1
; LDSByteSize: 0 bytes/workgroup (compile time only)
; SGPRBlocks: 0
; VGPRBlocks: 0
; NumSGPRsForWavesPerEU: 1
; NumVGPRsForWavesPerEU: 1
; Occupancy: 16
; WaveLimiterHint : 0
; COMPUTE_PGM_RSRC2:SCRATCH_EN: 0
; COMPUTE_PGM_RSRC2:USER_SGPR: 15
; COMPUTE_PGM_RSRC2:TRAP_HANDLER: 0
; COMPUTE_PGM_RSRC2:TGID_X_EN: 1
; COMPUTE_PGM_RSRC2:TGID_Y_EN: 0
; COMPUTE_PGM_RSRC2:TGID_Z_EN: 0
; COMPUTE_PGM_RSRC2:TIDIG_COMP_CNT: 0
	.section	.text._ZN7rocprim17ROCPRIM_400000_NS6detail31init_lookback_scan_state_kernelINS1_19lookback_scan_stateIiLb0ELb1EEENS1_16block_id_wrapperIjLb1EEEEEvT_jT0_jPNS7_10value_typeE,"axG",@progbits,_ZN7rocprim17ROCPRIM_400000_NS6detail31init_lookback_scan_state_kernelINS1_19lookback_scan_stateIiLb0ELb1EEENS1_16block_id_wrapperIjLb1EEEEEvT_jT0_jPNS7_10value_typeE,comdat
	.protected	_ZN7rocprim17ROCPRIM_400000_NS6detail31init_lookback_scan_state_kernelINS1_19lookback_scan_stateIiLb0ELb1EEENS1_16block_id_wrapperIjLb1EEEEEvT_jT0_jPNS7_10value_typeE ; -- Begin function _ZN7rocprim17ROCPRIM_400000_NS6detail31init_lookback_scan_state_kernelINS1_19lookback_scan_stateIiLb0ELb1EEENS1_16block_id_wrapperIjLb1EEEEEvT_jT0_jPNS7_10value_typeE
	.globl	_ZN7rocprim17ROCPRIM_400000_NS6detail31init_lookback_scan_state_kernelINS1_19lookback_scan_stateIiLb0ELb1EEENS1_16block_id_wrapperIjLb1EEEEEvT_jT0_jPNS7_10value_typeE
	.p2align	8
	.type	_ZN7rocprim17ROCPRIM_400000_NS6detail31init_lookback_scan_state_kernelINS1_19lookback_scan_stateIiLb0ELb1EEENS1_16block_id_wrapperIjLb1EEEEEvT_jT0_jPNS7_10value_typeE,@function
_ZN7rocprim17ROCPRIM_400000_NS6detail31init_lookback_scan_state_kernelINS1_19lookback_scan_stateIiLb0ELb1EEENS1_16block_id_wrapperIjLb1EEEEEvT_jT0_jPNS7_10value_typeE: ; @_ZN7rocprim17ROCPRIM_400000_NS6detail31init_lookback_scan_state_kernelINS1_19lookback_scan_stateIiLb0ELb1EEENS1_16block_id_wrapperIjLb1EEEEEvT_jT0_jPNS7_10value_typeE
; %bb.0:
	s_clause 0x3
	s_load_b32 s6, s[0:1], 0x34
	s_load_b64 s[4:5], s[0:1], 0x20
	s_load_b64 s[2:3], s[0:1], 0x0
	s_load_b32 s8, s[0:1], 0x8
	s_waitcnt lgkmcnt(0)
	s_and_b32 s6, s6, 0xffff
	s_cmp_eq_u64 s[4:5], 0
	v_mad_u64_u32 v[1:2], null, s15, s6, v[0:1]
	s_cbranch_scc1 .LBB67_6
; %bb.1:
	s_load_b32 s6, s[0:1], 0x18
	s_waitcnt lgkmcnt(0)
	s_cmp_lt_u32 s6, s8
	s_cselect_b32 s7, s6, 0
	s_delay_alu instid0(VALU_DEP_1) | instid1(SALU_CYCLE_1)
	v_cmp_eq_u32_e32 vcc_lo, s7, v1
	s_mov_b32 s7, 0
	s_and_saveexec_b32 s9, vcc_lo
	s_cbranch_execz .LBB67_5
; %bb.2:
	s_add_i32 s6, s6, 32
	v_mov_b32_e32 v4, 0
	s_lshl_b64 s[6:7], s[6:7], 3
	s_delay_alu instid0(SALU_CYCLE_1) | instskip(SKIP_4) | instid1(VALU_DEP_1)
	s_add_u32 s6, s2, s6
	s_addc_u32 s7, s3, s7
	global_load_b64 v[2:3], v4, s[6:7] glc
	s_waitcnt vmcnt(0)
	v_and_b32_e32 v5, 0xff, v3
	v_cmp_ne_u64_e32 vcc_lo, 0, v[4:5]
	s_cbranch_vccnz .LBB67_4
.LBB67_3:                               ; =>This Inner Loop Header: Depth=1
	global_load_b64 v[2:3], v4, s[6:7] glc
	s_waitcnt vmcnt(0)
	v_and_b32_e32 v5, 0xff, v3
	s_delay_alu instid0(VALU_DEP_1)
	v_cmp_eq_u64_e32 vcc_lo, 0, v[4:5]
	s_cbranch_vccnz .LBB67_3
.LBB67_4:
	v_mov_b32_e32 v0, 0
	global_store_b32 v0, v2, s[4:5]
.LBB67_5:
	s_or_b32 exec_lo, exec_lo, s9
.LBB67_6:
	s_delay_alu instid0(SALU_CYCLE_1) | instskip(NEXT) | instid1(VALU_DEP_1)
	s_mov_b32 s4, exec_lo
	v_cmpx_eq_u32_e32 0, v1
	s_cbranch_execz .LBB67_8
; %bb.7:
	s_load_b64 s[0:1], s[0:1], 0x10
	v_mov_b32_e32 v0, 0
	s_waitcnt lgkmcnt(0)
	global_store_b32 v0, v0, s[0:1]
.LBB67_8:
	s_or_b32 exec_lo, exec_lo, s4
	s_delay_alu instid0(SALU_CYCLE_1)
	s_mov_b32 s0, exec_lo
	v_cmpx_gt_u32_e64 s8, v1
	s_cbranch_execz .LBB67_10
; %bb.9:
	v_dual_mov_b32 v3, 0 :: v_dual_add_nc_u32 v2, 32, v1
	s_delay_alu instid0(VALU_DEP_1) | instskip(SKIP_1) | instid1(VALU_DEP_2)
	v_lshlrev_b64 v[4:5], 3, v[2:3]
	v_mov_b32_e32 v2, v3
	v_add_co_u32 v4, vcc_lo, s2, v4
	s_delay_alu instid0(VALU_DEP_3)
	v_add_co_ci_u32_e32 v5, vcc_lo, s3, v5, vcc_lo
	global_store_b64 v[4:5], v[2:3], off
.LBB67_10:
	s_or_b32 exec_lo, exec_lo, s0
	s_delay_alu instid0(SALU_CYCLE_1)
	s_mov_b32 s0, exec_lo
	v_cmpx_gt_u32_e32 32, v1
	s_cbranch_execz .LBB67_12
; %bb.11:
	v_dual_mov_b32 v2, 0 :: v_dual_mov_b32 v3, 0xff
	s_delay_alu instid0(VALU_DEP_1) | instskip(NEXT) | instid1(VALU_DEP_1)
	v_lshlrev_b64 v[0:1], 3, v[1:2]
	v_add_co_u32 v0, vcc_lo, s2, v0
	s_delay_alu instid0(VALU_DEP_2)
	v_add_co_ci_u32_e32 v1, vcc_lo, s3, v1, vcc_lo
	global_store_b64 v[0:1], v[2:3], off
.LBB67_12:
	s_nop 0
	s_sendmsg sendmsg(MSG_DEALLOC_VGPRS)
	s_endpgm
	.section	.rodata,"a",@progbits
	.p2align	6, 0x0
	.amdhsa_kernel _ZN7rocprim17ROCPRIM_400000_NS6detail31init_lookback_scan_state_kernelINS1_19lookback_scan_stateIiLb0ELb1EEENS1_16block_id_wrapperIjLb1EEEEEvT_jT0_jPNS7_10value_typeE
		.amdhsa_group_segment_fixed_size 0
		.amdhsa_private_segment_fixed_size 0
		.amdhsa_kernarg_size 296
		.amdhsa_user_sgpr_count 15
		.amdhsa_user_sgpr_dispatch_ptr 0
		.amdhsa_user_sgpr_queue_ptr 0
		.amdhsa_user_sgpr_kernarg_segment_ptr 1
		.amdhsa_user_sgpr_dispatch_id 0
		.amdhsa_user_sgpr_private_segment_size 0
		.amdhsa_wavefront_size32 1
		.amdhsa_uses_dynamic_stack 0
		.amdhsa_enable_private_segment 0
		.amdhsa_system_sgpr_workgroup_id_x 1
		.amdhsa_system_sgpr_workgroup_id_y 0
		.amdhsa_system_sgpr_workgroup_id_z 0
		.amdhsa_system_sgpr_workgroup_info 0
		.amdhsa_system_vgpr_workitem_id 0
		.amdhsa_next_free_vgpr 6
		.amdhsa_next_free_sgpr 16
		.amdhsa_reserve_vcc 1
		.amdhsa_float_round_mode_32 0
		.amdhsa_float_round_mode_16_64 0
		.amdhsa_float_denorm_mode_32 3
		.amdhsa_float_denorm_mode_16_64 3
		.amdhsa_dx10_clamp 1
		.amdhsa_ieee_mode 1
		.amdhsa_fp16_overflow 0
		.amdhsa_workgroup_processor_mode 1
		.amdhsa_memory_ordered 1
		.amdhsa_forward_progress 0
		.amdhsa_shared_vgpr_count 0
		.amdhsa_exception_fp_ieee_invalid_op 0
		.amdhsa_exception_fp_denorm_src 0
		.amdhsa_exception_fp_ieee_div_zero 0
		.amdhsa_exception_fp_ieee_overflow 0
		.amdhsa_exception_fp_ieee_underflow 0
		.amdhsa_exception_fp_ieee_inexact 0
		.amdhsa_exception_int_div_zero 0
	.end_amdhsa_kernel
	.section	.text._ZN7rocprim17ROCPRIM_400000_NS6detail31init_lookback_scan_state_kernelINS1_19lookback_scan_stateIiLb0ELb1EEENS1_16block_id_wrapperIjLb1EEEEEvT_jT0_jPNS7_10value_typeE,"axG",@progbits,_ZN7rocprim17ROCPRIM_400000_NS6detail31init_lookback_scan_state_kernelINS1_19lookback_scan_stateIiLb0ELb1EEENS1_16block_id_wrapperIjLb1EEEEEvT_jT0_jPNS7_10value_typeE,comdat
.Lfunc_end67:
	.size	_ZN7rocprim17ROCPRIM_400000_NS6detail31init_lookback_scan_state_kernelINS1_19lookback_scan_stateIiLb0ELb1EEENS1_16block_id_wrapperIjLb1EEEEEvT_jT0_jPNS7_10value_typeE, .Lfunc_end67-_ZN7rocprim17ROCPRIM_400000_NS6detail31init_lookback_scan_state_kernelINS1_19lookback_scan_stateIiLb0ELb1EEENS1_16block_id_wrapperIjLb1EEEEEvT_jT0_jPNS7_10value_typeE
                                        ; -- End function
	.section	.AMDGPU.csdata,"",@progbits
; Kernel info:
; codeLenInByte = 396
; NumSgprs: 18
; NumVgprs: 6
; ScratchSize: 0
; MemoryBound: 0
; FloatMode: 240
; IeeeMode: 1
; LDSByteSize: 0 bytes/workgroup (compile time only)
; SGPRBlocks: 2
; VGPRBlocks: 0
; NumSGPRsForWavesPerEU: 18
; NumVGPRsForWavesPerEU: 6
; Occupancy: 16
; WaveLimiterHint : 0
; COMPUTE_PGM_RSRC2:SCRATCH_EN: 0
; COMPUTE_PGM_RSRC2:USER_SGPR: 15
; COMPUTE_PGM_RSRC2:TRAP_HANDLER: 0
; COMPUTE_PGM_RSRC2:TGID_X_EN: 1
; COMPUTE_PGM_RSRC2:TGID_Y_EN: 0
; COMPUTE_PGM_RSRC2:TGID_Z_EN: 0
; COMPUTE_PGM_RSRC2:TIDIG_COMP_CNT: 0
	.section	.text._ZN7rocprim17ROCPRIM_400000_NS6detail17trampoline_kernelINS0_14default_configENS1_20scan_config_selectorIiEEZZNS1_9scan_implILNS1_25lookback_scan_determinismE0ELb0ELb0ES3_N6thrust23THRUST_200600_302600_NS6detail15normal_iteratorINS9_10device_ptrIiEEEESE_iNS9_4plusIvEEiEEDaPvRmT3_T4_T5_mT6_P12ihipStream_tbENKUlT_T0_E_clISt17integral_constantIbLb0EEST_IbLb1EEEEDaSP_SQ_EUlSP_E_NS1_11comp_targetILNS1_3genE0ELNS1_11target_archE4294967295ELNS1_3gpuE0ELNS1_3repE0EEENS1_30default_config_static_selectorELNS0_4arch9wavefront6targetE0EEEvT1_,"axG",@progbits,_ZN7rocprim17ROCPRIM_400000_NS6detail17trampoline_kernelINS0_14default_configENS1_20scan_config_selectorIiEEZZNS1_9scan_implILNS1_25lookback_scan_determinismE0ELb0ELb0ES3_N6thrust23THRUST_200600_302600_NS6detail15normal_iteratorINS9_10device_ptrIiEEEESE_iNS9_4plusIvEEiEEDaPvRmT3_T4_T5_mT6_P12ihipStream_tbENKUlT_T0_E_clISt17integral_constantIbLb0EEST_IbLb1EEEEDaSP_SQ_EUlSP_E_NS1_11comp_targetILNS1_3genE0ELNS1_11target_archE4294967295ELNS1_3gpuE0ELNS1_3repE0EEENS1_30default_config_static_selectorELNS0_4arch9wavefront6targetE0EEEvT1_,comdat
	.protected	_ZN7rocprim17ROCPRIM_400000_NS6detail17trampoline_kernelINS0_14default_configENS1_20scan_config_selectorIiEEZZNS1_9scan_implILNS1_25lookback_scan_determinismE0ELb0ELb0ES3_N6thrust23THRUST_200600_302600_NS6detail15normal_iteratorINS9_10device_ptrIiEEEESE_iNS9_4plusIvEEiEEDaPvRmT3_T4_T5_mT6_P12ihipStream_tbENKUlT_T0_E_clISt17integral_constantIbLb0EEST_IbLb1EEEEDaSP_SQ_EUlSP_E_NS1_11comp_targetILNS1_3genE0ELNS1_11target_archE4294967295ELNS1_3gpuE0ELNS1_3repE0EEENS1_30default_config_static_selectorELNS0_4arch9wavefront6targetE0EEEvT1_ ; -- Begin function _ZN7rocprim17ROCPRIM_400000_NS6detail17trampoline_kernelINS0_14default_configENS1_20scan_config_selectorIiEEZZNS1_9scan_implILNS1_25lookback_scan_determinismE0ELb0ELb0ES3_N6thrust23THRUST_200600_302600_NS6detail15normal_iteratorINS9_10device_ptrIiEEEESE_iNS9_4plusIvEEiEEDaPvRmT3_T4_T5_mT6_P12ihipStream_tbENKUlT_T0_E_clISt17integral_constantIbLb0EEST_IbLb1EEEEDaSP_SQ_EUlSP_E_NS1_11comp_targetILNS1_3genE0ELNS1_11target_archE4294967295ELNS1_3gpuE0ELNS1_3repE0EEENS1_30default_config_static_selectorELNS0_4arch9wavefront6targetE0EEEvT1_
	.globl	_ZN7rocprim17ROCPRIM_400000_NS6detail17trampoline_kernelINS0_14default_configENS1_20scan_config_selectorIiEEZZNS1_9scan_implILNS1_25lookback_scan_determinismE0ELb0ELb0ES3_N6thrust23THRUST_200600_302600_NS6detail15normal_iteratorINS9_10device_ptrIiEEEESE_iNS9_4plusIvEEiEEDaPvRmT3_T4_T5_mT6_P12ihipStream_tbENKUlT_T0_E_clISt17integral_constantIbLb0EEST_IbLb1EEEEDaSP_SQ_EUlSP_E_NS1_11comp_targetILNS1_3genE0ELNS1_11target_archE4294967295ELNS1_3gpuE0ELNS1_3repE0EEENS1_30default_config_static_selectorELNS0_4arch9wavefront6targetE0EEEvT1_
	.p2align	8
	.type	_ZN7rocprim17ROCPRIM_400000_NS6detail17trampoline_kernelINS0_14default_configENS1_20scan_config_selectorIiEEZZNS1_9scan_implILNS1_25lookback_scan_determinismE0ELb0ELb0ES3_N6thrust23THRUST_200600_302600_NS6detail15normal_iteratorINS9_10device_ptrIiEEEESE_iNS9_4plusIvEEiEEDaPvRmT3_T4_T5_mT6_P12ihipStream_tbENKUlT_T0_E_clISt17integral_constantIbLb0EEST_IbLb1EEEEDaSP_SQ_EUlSP_E_NS1_11comp_targetILNS1_3genE0ELNS1_11target_archE4294967295ELNS1_3gpuE0ELNS1_3repE0EEENS1_30default_config_static_selectorELNS0_4arch9wavefront6targetE0EEEvT1_,@function
_ZN7rocprim17ROCPRIM_400000_NS6detail17trampoline_kernelINS0_14default_configENS1_20scan_config_selectorIiEEZZNS1_9scan_implILNS1_25lookback_scan_determinismE0ELb0ELb0ES3_N6thrust23THRUST_200600_302600_NS6detail15normal_iteratorINS9_10device_ptrIiEEEESE_iNS9_4plusIvEEiEEDaPvRmT3_T4_T5_mT6_P12ihipStream_tbENKUlT_T0_E_clISt17integral_constantIbLb0EEST_IbLb1EEEEDaSP_SQ_EUlSP_E_NS1_11comp_targetILNS1_3genE0ELNS1_11target_archE4294967295ELNS1_3gpuE0ELNS1_3repE0EEENS1_30default_config_static_selectorELNS0_4arch9wavefront6targetE0EEEvT1_: ; @_ZN7rocprim17ROCPRIM_400000_NS6detail17trampoline_kernelINS0_14default_configENS1_20scan_config_selectorIiEEZZNS1_9scan_implILNS1_25lookback_scan_determinismE0ELb0ELb0ES3_N6thrust23THRUST_200600_302600_NS6detail15normal_iteratorINS9_10device_ptrIiEEEESE_iNS9_4plusIvEEiEEDaPvRmT3_T4_T5_mT6_P12ihipStream_tbENKUlT_T0_E_clISt17integral_constantIbLb0EEST_IbLb1EEEEDaSP_SQ_EUlSP_E_NS1_11comp_targetILNS1_3genE0ELNS1_11target_archE4294967295ELNS1_3gpuE0ELNS1_3repE0EEENS1_30default_config_static_selectorELNS0_4arch9wavefront6targetE0EEEvT1_
; %bb.0:
	.section	.rodata,"a",@progbits
	.p2align	6, 0x0
	.amdhsa_kernel _ZN7rocprim17ROCPRIM_400000_NS6detail17trampoline_kernelINS0_14default_configENS1_20scan_config_selectorIiEEZZNS1_9scan_implILNS1_25lookback_scan_determinismE0ELb0ELb0ES3_N6thrust23THRUST_200600_302600_NS6detail15normal_iteratorINS9_10device_ptrIiEEEESE_iNS9_4plusIvEEiEEDaPvRmT3_T4_T5_mT6_P12ihipStream_tbENKUlT_T0_E_clISt17integral_constantIbLb0EEST_IbLb1EEEEDaSP_SQ_EUlSP_E_NS1_11comp_targetILNS1_3genE0ELNS1_11target_archE4294967295ELNS1_3gpuE0ELNS1_3repE0EEENS1_30default_config_static_selectorELNS0_4arch9wavefront6targetE0EEEvT1_
		.amdhsa_group_segment_fixed_size 0
		.amdhsa_private_segment_fixed_size 0
		.amdhsa_kernarg_size 96
		.amdhsa_user_sgpr_count 15
		.amdhsa_user_sgpr_dispatch_ptr 0
		.amdhsa_user_sgpr_queue_ptr 0
		.amdhsa_user_sgpr_kernarg_segment_ptr 1
		.amdhsa_user_sgpr_dispatch_id 0
		.amdhsa_user_sgpr_private_segment_size 0
		.amdhsa_wavefront_size32 1
		.amdhsa_uses_dynamic_stack 0
		.amdhsa_enable_private_segment 0
		.amdhsa_system_sgpr_workgroup_id_x 1
		.amdhsa_system_sgpr_workgroup_id_y 0
		.amdhsa_system_sgpr_workgroup_id_z 0
		.amdhsa_system_sgpr_workgroup_info 0
		.amdhsa_system_vgpr_workitem_id 0
		.amdhsa_next_free_vgpr 1
		.amdhsa_next_free_sgpr 1
		.amdhsa_reserve_vcc 0
		.amdhsa_float_round_mode_32 0
		.amdhsa_float_round_mode_16_64 0
		.amdhsa_float_denorm_mode_32 3
		.amdhsa_float_denorm_mode_16_64 3
		.amdhsa_dx10_clamp 1
		.amdhsa_ieee_mode 1
		.amdhsa_fp16_overflow 0
		.amdhsa_workgroup_processor_mode 1
		.amdhsa_memory_ordered 1
		.amdhsa_forward_progress 0
		.amdhsa_shared_vgpr_count 0
		.amdhsa_exception_fp_ieee_invalid_op 0
		.amdhsa_exception_fp_denorm_src 0
		.amdhsa_exception_fp_ieee_div_zero 0
		.amdhsa_exception_fp_ieee_overflow 0
		.amdhsa_exception_fp_ieee_underflow 0
		.amdhsa_exception_fp_ieee_inexact 0
		.amdhsa_exception_int_div_zero 0
	.end_amdhsa_kernel
	.section	.text._ZN7rocprim17ROCPRIM_400000_NS6detail17trampoline_kernelINS0_14default_configENS1_20scan_config_selectorIiEEZZNS1_9scan_implILNS1_25lookback_scan_determinismE0ELb0ELb0ES3_N6thrust23THRUST_200600_302600_NS6detail15normal_iteratorINS9_10device_ptrIiEEEESE_iNS9_4plusIvEEiEEDaPvRmT3_T4_T5_mT6_P12ihipStream_tbENKUlT_T0_E_clISt17integral_constantIbLb0EEST_IbLb1EEEEDaSP_SQ_EUlSP_E_NS1_11comp_targetILNS1_3genE0ELNS1_11target_archE4294967295ELNS1_3gpuE0ELNS1_3repE0EEENS1_30default_config_static_selectorELNS0_4arch9wavefront6targetE0EEEvT1_,"axG",@progbits,_ZN7rocprim17ROCPRIM_400000_NS6detail17trampoline_kernelINS0_14default_configENS1_20scan_config_selectorIiEEZZNS1_9scan_implILNS1_25lookback_scan_determinismE0ELb0ELb0ES3_N6thrust23THRUST_200600_302600_NS6detail15normal_iteratorINS9_10device_ptrIiEEEESE_iNS9_4plusIvEEiEEDaPvRmT3_T4_T5_mT6_P12ihipStream_tbENKUlT_T0_E_clISt17integral_constantIbLb0EEST_IbLb1EEEEDaSP_SQ_EUlSP_E_NS1_11comp_targetILNS1_3genE0ELNS1_11target_archE4294967295ELNS1_3gpuE0ELNS1_3repE0EEENS1_30default_config_static_selectorELNS0_4arch9wavefront6targetE0EEEvT1_,comdat
.Lfunc_end68:
	.size	_ZN7rocprim17ROCPRIM_400000_NS6detail17trampoline_kernelINS0_14default_configENS1_20scan_config_selectorIiEEZZNS1_9scan_implILNS1_25lookback_scan_determinismE0ELb0ELb0ES3_N6thrust23THRUST_200600_302600_NS6detail15normal_iteratorINS9_10device_ptrIiEEEESE_iNS9_4plusIvEEiEEDaPvRmT3_T4_T5_mT6_P12ihipStream_tbENKUlT_T0_E_clISt17integral_constantIbLb0EEST_IbLb1EEEEDaSP_SQ_EUlSP_E_NS1_11comp_targetILNS1_3genE0ELNS1_11target_archE4294967295ELNS1_3gpuE0ELNS1_3repE0EEENS1_30default_config_static_selectorELNS0_4arch9wavefront6targetE0EEEvT1_, .Lfunc_end68-_ZN7rocprim17ROCPRIM_400000_NS6detail17trampoline_kernelINS0_14default_configENS1_20scan_config_selectorIiEEZZNS1_9scan_implILNS1_25lookback_scan_determinismE0ELb0ELb0ES3_N6thrust23THRUST_200600_302600_NS6detail15normal_iteratorINS9_10device_ptrIiEEEESE_iNS9_4plusIvEEiEEDaPvRmT3_T4_T5_mT6_P12ihipStream_tbENKUlT_T0_E_clISt17integral_constantIbLb0EEST_IbLb1EEEEDaSP_SQ_EUlSP_E_NS1_11comp_targetILNS1_3genE0ELNS1_11target_archE4294967295ELNS1_3gpuE0ELNS1_3repE0EEENS1_30default_config_static_selectorELNS0_4arch9wavefront6targetE0EEEvT1_
                                        ; -- End function
	.section	.AMDGPU.csdata,"",@progbits
; Kernel info:
; codeLenInByte = 0
; NumSgprs: 0
; NumVgprs: 0
; ScratchSize: 0
; MemoryBound: 0
; FloatMode: 240
; IeeeMode: 1
; LDSByteSize: 0 bytes/workgroup (compile time only)
; SGPRBlocks: 0
; VGPRBlocks: 0
; NumSGPRsForWavesPerEU: 1
; NumVGPRsForWavesPerEU: 1
; Occupancy: 16
; WaveLimiterHint : 0
; COMPUTE_PGM_RSRC2:SCRATCH_EN: 0
; COMPUTE_PGM_RSRC2:USER_SGPR: 15
; COMPUTE_PGM_RSRC2:TRAP_HANDLER: 0
; COMPUTE_PGM_RSRC2:TGID_X_EN: 1
; COMPUTE_PGM_RSRC2:TGID_Y_EN: 0
; COMPUTE_PGM_RSRC2:TGID_Z_EN: 0
; COMPUTE_PGM_RSRC2:TIDIG_COMP_CNT: 0
	.section	.text._ZN7rocprim17ROCPRIM_400000_NS6detail17trampoline_kernelINS0_14default_configENS1_20scan_config_selectorIiEEZZNS1_9scan_implILNS1_25lookback_scan_determinismE0ELb0ELb0ES3_N6thrust23THRUST_200600_302600_NS6detail15normal_iteratorINS9_10device_ptrIiEEEESE_iNS9_4plusIvEEiEEDaPvRmT3_T4_T5_mT6_P12ihipStream_tbENKUlT_T0_E_clISt17integral_constantIbLb0EEST_IbLb1EEEEDaSP_SQ_EUlSP_E_NS1_11comp_targetILNS1_3genE5ELNS1_11target_archE942ELNS1_3gpuE9ELNS1_3repE0EEENS1_30default_config_static_selectorELNS0_4arch9wavefront6targetE0EEEvT1_,"axG",@progbits,_ZN7rocprim17ROCPRIM_400000_NS6detail17trampoline_kernelINS0_14default_configENS1_20scan_config_selectorIiEEZZNS1_9scan_implILNS1_25lookback_scan_determinismE0ELb0ELb0ES3_N6thrust23THRUST_200600_302600_NS6detail15normal_iteratorINS9_10device_ptrIiEEEESE_iNS9_4plusIvEEiEEDaPvRmT3_T4_T5_mT6_P12ihipStream_tbENKUlT_T0_E_clISt17integral_constantIbLb0EEST_IbLb1EEEEDaSP_SQ_EUlSP_E_NS1_11comp_targetILNS1_3genE5ELNS1_11target_archE942ELNS1_3gpuE9ELNS1_3repE0EEENS1_30default_config_static_selectorELNS0_4arch9wavefront6targetE0EEEvT1_,comdat
	.protected	_ZN7rocprim17ROCPRIM_400000_NS6detail17trampoline_kernelINS0_14default_configENS1_20scan_config_selectorIiEEZZNS1_9scan_implILNS1_25lookback_scan_determinismE0ELb0ELb0ES3_N6thrust23THRUST_200600_302600_NS6detail15normal_iteratorINS9_10device_ptrIiEEEESE_iNS9_4plusIvEEiEEDaPvRmT3_T4_T5_mT6_P12ihipStream_tbENKUlT_T0_E_clISt17integral_constantIbLb0EEST_IbLb1EEEEDaSP_SQ_EUlSP_E_NS1_11comp_targetILNS1_3genE5ELNS1_11target_archE942ELNS1_3gpuE9ELNS1_3repE0EEENS1_30default_config_static_selectorELNS0_4arch9wavefront6targetE0EEEvT1_ ; -- Begin function _ZN7rocprim17ROCPRIM_400000_NS6detail17trampoline_kernelINS0_14default_configENS1_20scan_config_selectorIiEEZZNS1_9scan_implILNS1_25lookback_scan_determinismE0ELb0ELb0ES3_N6thrust23THRUST_200600_302600_NS6detail15normal_iteratorINS9_10device_ptrIiEEEESE_iNS9_4plusIvEEiEEDaPvRmT3_T4_T5_mT6_P12ihipStream_tbENKUlT_T0_E_clISt17integral_constantIbLb0EEST_IbLb1EEEEDaSP_SQ_EUlSP_E_NS1_11comp_targetILNS1_3genE5ELNS1_11target_archE942ELNS1_3gpuE9ELNS1_3repE0EEENS1_30default_config_static_selectorELNS0_4arch9wavefront6targetE0EEEvT1_
	.globl	_ZN7rocprim17ROCPRIM_400000_NS6detail17trampoline_kernelINS0_14default_configENS1_20scan_config_selectorIiEEZZNS1_9scan_implILNS1_25lookback_scan_determinismE0ELb0ELb0ES3_N6thrust23THRUST_200600_302600_NS6detail15normal_iteratorINS9_10device_ptrIiEEEESE_iNS9_4plusIvEEiEEDaPvRmT3_T4_T5_mT6_P12ihipStream_tbENKUlT_T0_E_clISt17integral_constantIbLb0EEST_IbLb1EEEEDaSP_SQ_EUlSP_E_NS1_11comp_targetILNS1_3genE5ELNS1_11target_archE942ELNS1_3gpuE9ELNS1_3repE0EEENS1_30default_config_static_selectorELNS0_4arch9wavefront6targetE0EEEvT1_
	.p2align	8
	.type	_ZN7rocprim17ROCPRIM_400000_NS6detail17trampoline_kernelINS0_14default_configENS1_20scan_config_selectorIiEEZZNS1_9scan_implILNS1_25lookback_scan_determinismE0ELb0ELb0ES3_N6thrust23THRUST_200600_302600_NS6detail15normal_iteratorINS9_10device_ptrIiEEEESE_iNS9_4plusIvEEiEEDaPvRmT3_T4_T5_mT6_P12ihipStream_tbENKUlT_T0_E_clISt17integral_constantIbLb0EEST_IbLb1EEEEDaSP_SQ_EUlSP_E_NS1_11comp_targetILNS1_3genE5ELNS1_11target_archE942ELNS1_3gpuE9ELNS1_3repE0EEENS1_30default_config_static_selectorELNS0_4arch9wavefront6targetE0EEEvT1_,@function
_ZN7rocprim17ROCPRIM_400000_NS6detail17trampoline_kernelINS0_14default_configENS1_20scan_config_selectorIiEEZZNS1_9scan_implILNS1_25lookback_scan_determinismE0ELb0ELb0ES3_N6thrust23THRUST_200600_302600_NS6detail15normal_iteratorINS9_10device_ptrIiEEEESE_iNS9_4plusIvEEiEEDaPvRmT3_T4_T5_mT6_P12ihipStream_tbENKUlT_T0_E_clISt17integral_constantIbLb0EEST_IbLb1EEEEDaSP_SQ_EUlSP_E_NS1_11comp_targetILNS1_3genE5ELNS1_11target_archE942ELNS1_3gpuE9ELNS1_3repE0EEENS1_30default_config_static_selectorELNS0_4arch9wavefront6targetE0EEEvT1_: ; @_ZN7rocprim17ROCPRIM_400000_NS6detail17trampoline_kernelINS0_14default_configENS1_20scan_config_selectorIiEEZZNS1_9scan_implILNS1_25lookback_scan_determinismE0ELb0ELb0ES3_N6thrust23THRUST_200600_302600_NS6detail15normal_iteratorINS9_10device_ptrIiEEEESE_iNS9_4plusIvEEiEEDaPvRmT3_T4_T5_mT6_P12ihipStream_tbENKUlT_T0_E_clISt17integral_constantIbLb0EEST_IbLb1EEEEDaSP_SQ_EUlSP_E_NS1_11comp_targetILNS1_3genE5ELNS1_11target_archE942ELNS1_3gpuE9ELNS1_3repE0EEENS1_30default_config_static_selectorELNS0_4arch9wavefront6targetE0EEEvT1_
; %bb.0:
	.section	.rodata,"a",@progbits
	.p2align	6, 0x0
	.amdhsa_kernel _ZN7rocprim17ROCPRIM_400000_NS6detail17trampoline_kernelINS0_14default_configENS1_20scan_config_selectorIiEEZZNS1_9scan_implILNS1_25lookback_scan_determinismE0ELb0ELb0ES3_N6thrust23THRUST_200600_302600_NS6detail15normal_iteratorINS9_10device_ptrIiEEEESE_iNS9_4plusIvEEiEEDaPvRmT3_T4_T5_mT6_P12ihipStream_tbENKUlT_T0_E_clISt17integral_constantIbLb0EEST_IbLb1EEEEDaSP_SQ_EUlSP_E_NS1_11comp_targetILNS1_3genE5ELNS1_11target_archE942ELNS1_3gpuE9ELNS1_3repE0EEENS1_30default_config_static_selectorELNS0_4arch9wavefront6targetE0EEEvT1_
		.amdhsa_group_segment_fixed_size 0
		.amdhsa_private_segment_fixed_size 0
		.amdhsa_kernarg_size 96
		.amdhsa_user_sgpr_count 15
		.amdhsa_user_sgpr_dispatch_ptr 0
		.amdhsa_user_sgpr_queue_ptr 0
		.amdhsa_user_sgpr_kernarg_segment_ptr 1
		.amdhsa_user_sgpr_dispatch_id 0
		.amdhsa_user_sgpr_private_segment_size 0
		.amdhsa_wavefront_size32 1
		.amdhsa_uses_dynamic_stack 0
		.amdhsa_enable_private_segment 0
		.amdhsa_system_sgpr_workgroup_id_x 1
		.amdhsa_system_sgpr_workgroup_id_y 0
		.amdhsa_system_sgpr_workgroup_id_z 0
		.amdhsa_system_sgpr_workgroup_info 0
		.amdhsa_system_vgpr_workitem_id 0
		.amdhsa_next_free_vgpr 1
		.amdhsa_next_free_sgpr 1
		.amdhsa_reserve_vcc 0
		.amdhsa_float_round_mode_32 0
		.amdhsa_float_round_mode_16_64 0
		.amdhsa_float_denorm_mode_32 3
		.amdhsa_float_denorm_mode_16_64 3
		.amdhsa_dx10_clamp 1
		.amdhsa_ieee_mode 1
		.amdhsa_fp16_overflow 0
		.amdhsa_workgroup_processor_mode 1
		.amdhsa_memory_ordered 1
		.amdhsa_forward_progress 0
		.amdhsa_shared_vgpr_count 0
		.amdhsa_exception_fp_ieee_invalid_op 0
		.amdhsa_exception_fp_denorm_src 0
		.amdhsa_exception_fp_ieee_div_zero 0
		.amdhsa_exception_fp_ieee_overflow 0
		.amdhsa_exception_fp_ieee_underflow 0
		.amdhsa_exception_fp_ieee_inexact 0
		.amdhsa_exception_int_div_zero 0
	.end_amdhsa_kernel
	.section	.text._ZN7rocprim17ROCPRIM_400000_NS6detail17trampoline_kernelINS0_14default_configENS1_20scan_config_selectorIiEEZZNS1_9scan_implILNS1_25lookback_scan_determinismE0ELb0ELb0ES3_N6thrust23THRUST_200600_302600_NS6detail15normal_iteratorINS9_10device_ptrIiEEEESE_iNS9_4plusIvEEiEEDaPvRmT3_T4_T5_mT6_P12ihipStream_tbENKUlT_T0_E_clISt17integral_constantIbLb0EEST_IbLb1EEEEDaSP_SQ_EUlSP_E_NS1_11comp_targetILNS1_3genE5ELNS1_11target_archE942ELNS1_3gpuE9ELNS1_3repE0EEENS1_30default_config_static_selectorELNS0_4arch9wavefront6targetE0EEEvT1_,"axG",@progbits,_ZN7rocprim17ROCPRIM_400000_NS6detail17trampoline_kernelINS0_14default_configENS1_20scan_config_selectorIiEEZZNS1_9scan_implILNS1_25lookback_scan_determinismE0ELb0ELb0ES3_N6thrust23THRUST_200600_302600_NS6detail15normal_iteratorINS9_10device_ptrIiEEEESE_iNS9_4plusIvEEiEEDaPvRmT3_T4_T5_mT6_P12ihipStream_tbENKUlT_T0_E_clISt17integral_constantIbLb0EEST_IbLb1EEEEDaSP_SQ_EUlSP_E_NS1_11comp_targetILNS1_3genE5ELNS1_11target_archE942ELNS1_3gpuE9ELNS1_3repE0EEENS1_30default_config_static_selectorELNS0_4arch9wavefront6targetE0EEEvT1_,comdat
.Lfunc_end69:
	.size	_ZN7rocprim17ROCPRIM_400000_NS6detail17trampoline_kernelINS0_14default_configENS1_20scan_config_selectorIiEEZZNS1_9scan_implILNS1_25lookback_scan_determinismE0ELb0ELb0ES3_N6thrust23THRUST_200600_302600_NS6detail15normal_iteratorINS9_10device_ptrIiEEEESE_iNS9_4plusIvEEiEEDaPvRmT3_T4_T5_mT6_P12ihipStream_tbENKUlT_T0_E_clISt17integral_constantIbLb0EEST_IbLb1EEEEDaSP_SQ_EUlSP_E_NS1_11comp_targetILNS1_3genE5ELNS1_11target_archE942ELNS1_3gpuE9ELNS1_3repE0EEENS1_30default_config_static_selectorELNS0_4arch9wavefront6targetE0EEEvT1_, .Lfunc_end69-_ZN7rocprim17ROCPRIM_400000_NS6detail17trampoline_kernelINS0_14default_configENS1_20scan_config_selectorIiEEZZNS1_9scan_implILNS1_25lookback_scan_determinismE0ELb0ELb0ES3_N6thrust23THRUST_200600_302600_NS6detail15normal_iteratorINS9_10device_ptrIiEEEESE_iNS9_4plusIvEEiEEDaPvRmT3_T4_T5_mT6_P12ihipStream_tbENKUlT_T0_E_clISt17integral_constantIbLb0EEST_IbLb1EEEEDaSP_SQ_EUlSP_E_NS1_11comp_targetILNS1_3genE5ELNS1_11target_archE942ELNS1_3gpuE9ELNS1_3repE0EEENS1_30default_config_static_selectorELNS0_4arch9wavefront6targetE0EEEvT1_
                                        ; -- End function
	.section	.AMDGPU.csdata,"",@progbits
; Kernel info:
; codeLenInByte = 0
; NumSgprs: 0
; NumVgprs: 0
; ScratchSize: 0
; MemoryBound: 0
; FloatMode: 240
; IeeeMode: 1
; LDSByteSize: 0 bytes/workgroup (compile time only)
; SGPRBlocks: 0
; VGPRBlocks: 0
; NumSGPRsForWavesPerEU: 1
; NumVGPRsForWavesPerEU: 1
; Occupancy: 16
; WaveLimiterHint : 0
; COMPUTE_PGM_RSRC2:SCRATCH_EN: 0
; COMPUTE_PGM_RSRC2:USER_SGPR: 15
; COMPUTE_PGM_RSRC2:TRAP_HANDLER: 0
; COMPUTE_PGM_RSRC2:TGID_X_EN: 1
; COMPUTE_PGM_RSRC2:TGID_Y_EN: 0
; COMPUTE_PGM_RSRC2:TGID_Z_EN: 0
; COMPUTE_PGM_RSRC2:TIDIG_COMP_CNT: 0
	.section	.text._ZN7rocprim17ROCPRIM_400000_NS6detail17trampoline_kernelINS0_14default_configENS1_20scan_config_selectorIiEEZZNS1_9scan_implILNS1_25lookback_scan_determinismE0ELb0ELb0ES3_N6thrust23THRUST_200600_302600_NS6detail15normal_iteratorINS9_10device_ptrIiEEEESE_iNS9_4plusIvEEiEEDaPvRmT3_T4_T5_mT6_P12ihipStream_tbENKUlT_T0_E_clISt17integral_constantIbLb0EEST_IbLb1EEEEDaSP_SQ_EUlSP_E_NS1_11comp_targetILNS1_3genE4ELNS1_11target_archE910ELNS1_3gpuE8ELNS1_3repE0EEENS1_30default_config_static_selectorELNS0_4arch9wavefront6targetE0EEEvT1_,"axG",@progbits,_ZN7rocprim17ROCPRIM_400000_NS6detail17trampoline_kernelINS0_14default_configENS1_20scan_config_selectorIiEEZZNS1_9scan_implILNS1_25lookback_scan_determinismE0ELb0ELb0ES3_N6thrust23THRUST_200600_302600_NS6detail15normal_iteratorINS9_10device_ptrIiEEEESE_iNS9_4plusIvEEiEEDaPvRmT3_T4_T5_mT6_P12ihipStream_tbENKUlT_T0_E_clISt17integral_constantIbLb0EEST_IbLb1EEEEDaSP_SQ_EUlSP_E_NS1_11comp_targetILNS1_3genE4ELNS1_11target_archE910ELNS1_3gpuE8ELNS1_3repE0EEENS1_30default_config_static_selectorELNS0_4arch9wavefront6targetE0EEEvT1_,comdat
	.protected	_ZN7rocprim17ROCPRIM_400000_NS6detail17trampoline_kernelINS0_14default_configENS1_20scan_config_selectorIiEEZZNS1_9scan_implILNS1_25lookback_scan_determinismE0ELb0ELb0ES3_N6thrust23THRUST_200600_302600_NS6detail15normal_iteratorINS9_10device_ptrIiEEEESE_iNS9_4plusIvEEiEEDaPvRmT3_T4_T5_mT6_P12ihipStream_tbENKUlT_T0_E_clISt17integral_constantIbLb0EEST_IbLb1EEEEDaSP_SQ_EUlSP_E_NS1_11comp_targetILNS1_3genE4ELNS1_11target_archE910ELNS1_3gpuE8ELNS1_3repE0EEENS1_30default_config_static_selectorELNS0_4arch9wavefront6targetE0EEEvT1_ ; -- Begin function _ZN7rocprim17ROCPRIM_400000_NS6detail17trampoline_kernelINS0_14default_configENS1_20scan_config_selectorIiEEZZNS1_9scan_implILNS1_25lookback_scan_determinismE0ELb0ELb0ES3_N6thrust23THRUST_200600_302600_NS6detail15normal_iteratorINS9_10device_ptrIiEEEESE_iNS9_4plusIvEEiEEDaPvRmT3_T4_T5_mT6_P12ihipStream_tbENKUlT_T0_E_clISt17integral_constantIbLb0EEST_IbLb1EEEEDaSP_SQ_EUlSP_E_NS1_11comp_targetILNS1_3genE4ELNS1_11target_archE910ELNS1_3gpuE8ELNS1_3repE0EEENS1_30default_config_static_selectorELNS0_4arch9wavefront6targetE0EEEvT1_
	.globl	_ZN7rocprim17ROCPRIM_400000_NS6detail17trampoline_kernelINS0_14default_configENS1_20scan_config_selectorIiEEZZNS1_9scan_implILNS1_25lookback_scan_determinismE0ELb0ELb0ES3_N6thrust23THRUST_200600_302600_NS6detail15normal_iteratorINS9_10device_ptrIiEEEESE_iNS9_4plusIvEEiEEDaPvRmT3_T4_T5_mT6_P12ihipStream_tbENKUlT_T0_E_clISt17integral_constantIbLb0EEST_IbLb1EEEEDaSP_SQ_EUlSP_E_NS1_11comp_targetILNS1_3genE4ELNS1_11target_archE910ELNS1_3gpuE8ELNS1_3repE0EEENS1_30default_config_static_selectorELNS0_4arch9wavefront6targetE0EEEvT1_
	.p2align	8
	.type	_ZN7rocprim17ROCPRIM_400000_NS6detail17trampoline_kernelINS0_14default_configENS1_20scan_config_selectorIiEEZZNS1_9scan_implILNS1_25lookback_scan_determinismE0ELb0ELb0ES3_N6thrust23THRUST_200600_302600_NS6detail15normal_iteratorINS9_10device_ptrIiEEEESE_iNS9_4plusIvEEiEEDaPvRmT3_T4_T5_mT6_P12ihipStream_tbENKUlT_T0_E_clISt17integral_constantIbLb0EEST_IbLb1EEEEDaSP_SQ_EUlSP_E_NS1_11comp_targetILNS1_3genE4ELNS1_11target_archE910ELNS1_3gpuE8ELNS1_3repE0EEENS1_30default_config_static_selectorELNS0_4arch9wavefront6targetE0EEEvT1_,@function
_ZN7rocprim17ROCPRIM_400000_NS6detail17trampoline_kernelINS0_14default_configENS1_20scan_config_selectorIiEEZZNS1_9scan_implILNS1_25lookback_scan_determinismE0ELb0ELb0ES3_N6thrust23THRUST_200600_302600_NS6detail15normal_iteratorINS9_10device_ptrIiEEEESE_iNS9_4plusIvEEiEEDaPvRmT3_T4_T5_mT6_P12ihipStream_tbENKUlT_T0_E_clISt17integral_constantIbLb0EEST_IbLb1EEEEDaSP_SQ_EUlSP_E_NS1_11comp_targetILNS1_3genE4ELNS1_11target_archE910ELNS1_3gpuE8ELNS1_3repE0EEENS1_30default_config_static_selectorELNS0_4arch9wavefront6targetE0EEEvT1_: ; @_ZN7rocprim17ROCPRIM_400000_NS6detail17trampoline_kernelINS0_14default_configENS1_20scan_config_selectorIiEEZZNS1_9scan_implILNS1_25lookback_scan_determinismE0ELb0ELb0ES3_N6thrust23THRUST_200600_302600_NS6detail15normal_iteratorINS9_10device_ptrIiEEEESE_iNS9_4plusIvEEiEEDaPvRmT3_T4_T5_mT6_P12ihipStream_tbENKUlT_T0_E_clISt17integral_constantIbLb0EEST_IbLb1EEEEDaSP_SQ_EUlSP_E_NS1_11comp_targetILNS1_3genE4ELNS1_11target_archE910ELNS1_3gpuE8ELNS1_3repE0EEENS1_30default_config_static_selectorELNS0_4arch9wavefront6targetE0EEEvT1_
; %bb.0:
	.section	.rodata,"a",@progbits
	.p2align	6, 0x0
	.amdhsa_kernel _ZN7rocprim17ROCPRIM_400000_NS6detail17trampoline_kernelINS0_14default_configENS1_20scan_config_selectorIiEEZZNS1_9scan_implILNS1_25lookback_scan_determinismE0ELb0ELb0ES3_N6thrust23THRUST_200600_302600_NS6detail15normal_iteratorINS9_10device_ptrIiEEEESE_iNS9_4plusIvEEiEEDaPvRmT3_T4_T5_mT6_P12ihipStream_tbENKUlT_T0_E_clISt17integral_constantIbLb0EEST_IbLb1EEEEDaSP_SQ_EUlSP_E_NS1_11comp_targetILNS1_3genE4ELNS1_11target_archE910ELNS1_3gpuE8ELNS1_3repE0EEENS1_30default_config_static_selectorELNS0_4arch9wavefront6targetE0EEEvT1_
		.amdhsa_group_segment_fixed_size 0
		.amdhsa_private_segment_fixed_size 0
		.amdhsa_kernarg_size 96
		.amdhsa_user_sgpr_count 15
		.amdhsa_user_sgpr_dispatch_ptr 0
		.amdhsa_user_sgpr_queue_ptr 0
		.amdhsa_user_sgpr_kernarg_segment_ptr 1
		.amdhsa_user_sgpr_dispatch_id 0
		.amdhsa_user_sgpr_private_segment_size 0
		.amdhsa_wavefront_size32 1
		.amdhsa_uses_dynamic_stack 0
		.amdhsa_enable_private_segment 0
		.amdhsa_system_sgpr_workgroup_id_x 1
		.amdhsa_system_sgpr_workgroup_id_y 0
		.amdhsa_system_sgpr_workgroup_id_z 0
		.amdhsa_system_sgpr_workgroup_info 0
		.amdhsa_system_vgpr_workitem_id 0
		.amdhsa_next_free_vgpr 1
		.amdhsa_next_free_sgpr 1
		.amdhsa_reserve_vcc 0
		.amdhsa_float_round_mode_32 0
		.amdhsa_float_round_mode_16_64 0
		.amdhsa_float_denorm_mode_32 3
		.amdhsa_float_denorm_mode_16_64 3
		.amdhsa_dx10_clamp 1
		.amdhsa_ieee_mode 1
		.amdhsa_fp16_overflow 0
		.amdhsa_workgroup_processor_mode 1
		.amdhsa_memory_ordered 1
		.amdhsa_forward_progress 0
		.amdhsa_shared_vgpr_count 0
		.amdhsa_exception_fp_ieee_invalid_op 0
		.amdhsa_exception_fp_denorm_src 0
		.amdhsa_exception_fp_ieee_div_zero 0
		.amdhsa_exception_fp_ieee_overflow 0
		.amdhsa_exception_fp_ieee_underflow 0
		.amdhsa_exception_fp_ieee_inexact 0
		.amdhsa_exception_int_div_zero 0
	.end_amdhsa_kernel
	.section	.text._ZN7rocprim17ROCPRIM_400000_NS6detail17trampoline_kernelINS0_14default_configENS1_20scan_config_selectorIiEEZZNS1_9scan_implILNS1_25lookback_scan_determinismE0ELb0ELb0ES3_N6thrust23THRUST_200600_302600_NS6detail15normal_iteratorINS9_10device_ptrIiEEEESE_iNS9_4plusIvEEiEEDaPvRmT3_T4_T5_mT6_P12ihipStream_tbENKUlT_T0_E_clISt17integral_constantIbLb0EEST_IbLb1EEEEDaSP_SQ_EUlSP_E_NS1_11comp_targetILNS1_3genE4ELNS1_11target_archE910ELNS1_3gpuE8ELNS1_3repE0EEENS1_30default_config_static_selectorELNS0_4arch9wavefront6targetE0EEEvT1_,"axG",@progbits,_ZN7rocprim17ROCPRIM_400000_NS6detail17trampoline_kernelINS0_14default_configENS1_20scan_config_selectorIiEEZZNS1_9scan_implILNS1_25lookback_scan_determinismE0ELb0ELb0ES3_N6thrust23THRUST_200600_302600_NS6detail15normal_iteratorINS9_10device_ptrIiEEEESE_iNS9_4plusIvEEiEEDaPvRmT3_T4_T5_mT6_P12ihipStream_tbENKUlT_T0_E_clISt17integral_constantIbLb0EEST_IbLb1EEEEDaSP_SQ_EUlSP_E_NS1_11comp_targetILNS1_3genE4ELNS1_11target_archE910ELNS1_3gpuE8ELNS1_3repE0EEENS1_30default_config_static_selectorELNS0_4arch9wavefront6targetE0EEEvT1_,comdat
.Lfunc_end70:
	.size	_ZN7rocprim17ROCPRIM_400000_NS6detail17trampoline_kernelINS0_14default_configENS1_20scan_config_selectorIiEEZZNS1_9scan_implILNS1_25lookback_scan_determinismE0ELb0ELb0ES3_N6thrust23THRUST_200600_302600_NS6detail15normal_iteratorINS9_10device_ptrIiEEEESE_iNS9_4plusIvEEiEEDaPvRmT3_T4_T5_mT6_P12ihipStream_tbENKUlT_T0_E_clISt17integral_constantIbLb0EEST_IbLb1EEEEDaSP_SQ_EUlSP_E_NS1_11comp_targetILNS1_3genE4ELNS1_11target_archE910ELNS1_3gpuE8ELNS1_3repE0EEENS1_30default_config_static_selectorELNS0_4arch9wavefront6targetE0EEEvT1_, .Lfunc_end70-_ZN7rocprim17ROCPRIM_400000_NS6detail17trampoline_kernelINS0_14default_configENS1_20scan_config_selectorIiEEZZNS1_9scan_implILNS1_25lookback_scan_determinismE0ELb0ELb0ES3_N6thrust23THRUST_200600_302600_NS6detail15normal_iteratorINS9_10device_ptrIiEEEESE_iNS9_4plusIvEEiEEDaPvRmT3_T4_T5_mT6_P12ihipStream_tbENKUlT_T0_E_clISt17integral_constantIbLb0EEST_IbLb1EEEEDaSP_SQ_EUlSP_E_NS1_11comp_targetILNS1_3genE4ELNS1_11target_archE910ELNS1_3gpuE8ELNS1_3repE0EEENS1_30default_config_static_selectorELNS0_4arch9wavefront6targetE0EEEvT1_
                                        ; -- End function
	.section	.AMDGPU.csdata,"",@progbits
; Kernel info:
; codeLenInByte = 0
; NumSgprs: 0
; NumVgprs: 0
; ScratchSize: 0
; MemoryBound: 0
; FloatMode: 240
; IeeeMode: 1
; LDSByteSize: 0 bytes/workgroup (compile time only)
; SGPRBlocks: 0
; VGPRBlocks: 0
; NumSGPRsForWavesPerEU: 1
; NumVGPRsForWavesPerEU: 1
; Occupancy: 16
; WaveLimiterHint : 0
; COMPUTE_PGM_RSRC2:SCRATCH_EN: 0
; COMPUTE_PGM_RSRC2:USER_SGPR: 15
; COMPUTE_PGM_RSRC2:TRAP_HANDLER: 0
; COMPUTE_PGM_RSRC2:TGID_X_EN: 1
; COMPUTE_PGM_RSRC2:TGID_Y_EN: 0
; COMPUTE_PGM_RSRC2:TGID_Z_EN: 0
; COMPUTE_PGM_RSRC2:TIDIG_COMP_CNT: 0
	.section	.text._ZN7rocprim17ROCPRIM_400000_NS6detail17trampoline_kernelINS0_14default_configENS1_20scan_config_selectorIiEEZZNS1_9scan_implILNS1_25lookback_scan_determinismE0ELb0ELb0ES3_N6thrust23THRUST_200600_302600_NS6detail15normal_iteratorINS9_10device_ptrIiEEEESE_iNS9_4plusIvEEiEEDaPvRmT3_T4_T5_mT6_P12ihipStream_tbENKUlT_T0_E_clISt17integral_constantIbLb0EEST_IbLb1EEEEDaSP_SQ_EUlSP_E_NS1_11comp_targetILNS1_3genE3ELNS1_11target_archE908ELNS1_3gpuE7ELNS1_3repE0EEENS1_30default_config_static_selectorELNS0_4arch9wavefront6targetE0EEEvT1_,"axG",@progbits,_ZN7rocprim17ROCPRIM_400000_NS6detail17trampoline_kernelINS0_14default_configENS1_20scan_config_selectorIiEEZZNS1_9scan_implILNS1_25lookback_scan_determinismE0ELb0ELb0ES3_N6thrust23THRUST_200600_302600_NS6detail15normal_iteratorINS9_10device_ptrIiEEEESE_iNS9_4plusIvEEiEEDaPvRmT3_T4_T5_mT6_P12ihipStream_tbENKUlT_T0_E_clISt17integral_constantIbLb0EEST_IbLb1EEEEDaSP_SQ_EUlSP_E_NS1_11comp_targetILNS1_3genE3ELNS1_11target_archE908ELNS1_3gpuE7ELNS1_3repE0EEENS1_30default_config_static_selectorELNS0_4arch9wavefront6targetE0EEEvT1_,comdat
	.protected	_ZN7rocprim17ROCPRIM_400000_NS6detail17trampoline_kernelINS0_14default_configENS1_20scan_config_selectorIiEEZZNS1_9scan_implILNS1_25lookback_scan_determinismE0ELb0ELb0ES3_N6thrust23THRUST_200600_302600_NS6detail15normal_iteratorINS9_10device_ptrIiEEEESE_iNS9_4plusIvEEiEEDaPvRmT3_T4_T5_mT6_P12ihipStream_tbENKUlT_T0_E_clISt17integral_constantIbLb0EEST_IbLb1EEEEDaSP_SQ_EUlSP_E_NS1_11comp_targetILNS1_3genE3ELNS1_11target_archE908ELNS1_3gpuE7ELNS1_3repE0EEENS1_30default_config_static_selectorELNS0_4arch9wavefront6targetE0EEEvT1_ ; -- Begin function _ZN7rocprim17ROCPRIM_400000_NS6detail17trampoline_kernelINS0_14default_configENS1_20scan_config_selectorIiEEZZNS1_9scan_implILNS1_25lookback_scan_determinismE0ELb0ELb0ES3_N6thrust23THRUST_200600_302600_NS6detail15normal_iteratorINS9_10device_ptrIiEEEESE_iNS9_4plusIvEEiEEDaPvRmT3_T4_T5_mT6_P12ihipStream_tbENKUlT_T0_E_clISt17integral_constantIbLb0EEST_IbLb1EEEEDaSP_SQ_EUlSP_E_NS1_11comp_targetILNS1_3genE3ELNS1_11target_archE908ELNS1_3gpuE7ELNS1_3repE0EEENS1_30default_config_static_selectorELNS0_4arch9wavefront6targetE0EEEvT1_
	.globl	_ZN7rocprim17ROCPRIM_400000_NS6detail17trampoline_kernelINS0_14default_configENS1_20scan_config_selectorIiEEZZNS1_9scan_implILNS1_25lookback_scan_determinismE0ELb0ELb0ES3_N6thrust23THRUST_200600_302600_NS6detail15normal_iteratorINS9_10device_ptrIiEEEESE_iNS9_4plusIvEEiEEDaPvRmT3_T4_T5_mT6_P12ihipStream_tbENKUlT_T0_E_clISt17integral_constantIbLb0EEST_IbLb1EEEEDaSP_SQ_EUlSP_E_NS1_11comp_targetILNS1_3genE3ELNS1_11target_archE908ELNS1_3gpuE7ELNS1_3repE0EEENS1_30default_config_static_selectorELNS0_4arch9wavefront6targetE0EEEvT1_
	.p2align	8
	.type	_ZN7rocprim17ROCPRIM_400000_NS6detail17trampoline_kernelINS0_14default_configENS1_20scan_config_selectorIiEEZZNS1_9scan_implILNS1_25lookback_scan_determinismE0ELb0ELb0ES3_N6thrust23THRUST_200600_302600_NS6detail15normal_iteratorINS9_10device_ptrIiEEEESE_iNS9_4plusIvEEiEEDaPvRmT3_T4_T5_mT6_P12ihipStream_tbENKUlT_T0_E_clISt17integral_constantIbLb0EEST_IbLb1EEEEDaSP_SQ_EUlSP_E_NS1_11comp_targetILNS1_3genE3ELNS1_11target_archE908ELNS1_3gpuE7ELNS1_3repE0EEENS1_30default_config_static_selectorELNS0_4arch9wavefront6targetE0EEEvT1_,@function
_ZN7rocprim17ROCPRIM_400000_NS6detail17trampoline_kernelINS0_14default_configENS1_20scan_config_selectorIiEEZZNS1_9scan_implILNS1_25lookback_scan_determinismE0ELb0ELb0ES3_N6thrust23THRUST_200600_302600_NS6detail15normal_iteratorINS9_10device_ptrIiEEEESE_iNS9_4plusIvEEiEEDaPvRmT3_T4_T5_mT6_P12ihipStream_tbENKUlT_T0_E_clISt17integral_constantIbLb0EEST_IbLb1EEEEDaSP_SQ_EUlSP_E_NS1_11comp_targetILNS1_3genE3ELNS1_11target_archE908ELNS1_3gpuE7ELNS1_3repE0EEENS1_30default_config_static_selectorELNS0_4arch9wavefront6targetE0EEEvT1_: ; @_ZN7rocprim17ROCPRIM_400000_NS6detail17trampoline_kernelINS0_14default_configENS1_20scan_config_selectorIiEEZZNS1_9scan_implILNS1_25lookback_scan_determinismE0ELb0ELb0ES3_N6thrust23THRUST_200600_302600_NS6detail15normal_iteratorINS9_10device_ptrIiEEEESE_iNS9_4plusIvEEiEEDaPvRmT3_T4_T5_mT6_P12ihipStream_tbENKUlT_T0_E_clISt17integral_constantIbLb0EEST_IbLb1EEEEDaSP_SQ_EUlSP_E_NS1_11comp_targetILNS1_3genE3ELNS1_11target_archE908ELNS1_3gpuE7ELNS1_3repE0EEENS1_30default_config_static_selectorELNS0_4arch9wavefront6targetE0EEEvT1_
; %bb.0:
	.section	.rodata,"a",@progbits
	.p2align	6, 0x0
	.amdhsa_kernel _ZN7rocprim17ROCPRIM_400000_NS6detail17trampoline_kernelINS0_14default_configENS1_20scan_config_selectorIiEEZZNS1_9scan_implILNS1_25lookback_scan_determinismE0ELb0ELb0ES3_N6thrust23THRUST_200600_302600_NS6detail15normal_iteratorINS9_10device_ptrIiEEEESE_iNS9_4plusIvEEiEEDaPvRmT3_T4_T5_mT6_P12ihipStream_tbENKUlT_T0_E_clISt17integral_constantIbLb0EEST_IbLb1EEEEDaSP_SQ_EUlSP_E_NS1_11comp_targetILNS1_3genE3ELNS1_11target_archE908ELNS1_3gpuE7ELNS1_3repE0EEENS1_30default_config_static_selectorELNS0_4arch9wavefront6targetE0EEEvT1_
		.amdhsa_group_segment_fixed_size 0
		.amdhsa_private_segment_fixed_size 0
		.amdhsa_kernarg_size 96
		.amdhsa_user_sgpr_count 15
		.amdhsa_user_sgpr_dispatch_ptr 0
		.amdhsa_user_sgpr_queue_ptr 0
		.amdhsa_user_sgpr_kernarg_segment_ptr 1
		.amdhsa_user_sgpr_dispatch_id 0
		.amdhsa_user_sgpr_private_segment_size 0
		.amdhsa_wavefront_size32 1
		.amdhsa_uses_dynamic_stack 0
		.amdhsa_enable_private_segment 0
		.amdhsa_system_sgpr_workgroup_id_x 1
		.amdhsa_system_sgpr_workgroup_id_y 0
		.amdhsa_system_sgpr_workgroup_id_z 0
		.amdhsa_system_sgpr_workgroup_info 0
		.amdhsa_system_vgpr_workitem_id 0
		.amdhsa_next_free_vgpr 1
		.amdhsa_next_free_sgpr 1
		.amdhsa_reserve_vcc 0
		.amdhsa_float_round_mode_32 0
		.amdhsa_float_round_mode_16_64 0
		.amdhsa_float_denorm_mode_32 3
		.amdhsa_float_denorm_mode_16_64 3
		.amdhsa_dx10_clamp 1
		.amdhsa_ieee_mode 1
		.amdhsa_fp16_overflow 0
		.amdhsa_workgroup_processor_mode 1
		.amdhsa_memory_ordered 1
		.amdhsa_forward_progress 0
		.amdhsa_shared_vgpr_count 0
		.amdhsa_exception_fp_ieee_invalid_op 0
		.amdhsa_exception_fp_denorm_src 0
		.amdhsa_exception_fp_ieee_div_zero 0
		.amdhsa_exception_fp_ieee_overflow 0
		.amdhsa_exception_fp_ieee_underflow 0
		.amdhsa_exception_fp_ieee_inexact 0
		.amdhsa_exception_int_div_zero 0
	.end_amdhsa_kernel
	.section	.text._ZN7rocprim17ROCPRIM_400000_NS6detail17trampoline_kernelINS0_14default_configENS1_20scan_config_selectorIiEEZZNS1_9scan_implILNS1_25lookback_scan_determinismE0ELb0ELb0ES3_N6thrust23THRUST_200600_302600_NS6detail15normal_iteratorINS9_10device_ptrIiEEEESE_iNS9_4plusIvEEiEEDaPvRmT3_T4_T5_mT6_P12ihipStream_tbENKUlT_T0_E_clISt17integral_constantIbLb0EEST_IbLb1EEEEDaSP_SQ_EUlSP_E_NS1_11comp_targetILNS1_3genE3ELNS1_11target_archE908ELNS1_3gpuE7ELNS1_3repE0EEENS1_30default_config_static_selectorELNS0_4arch9wavefront6targetE0EEEvT1_,"axG",@progbits,_ZN7rocprim17ROCPRIM_400000_NS6detail17trampoline_kernelINS0_14default_configENS1_20scan_config_selectorIiEEZZNS1_9scan_implILNS1_25lookback_scan_determinismE0ELb0ELb0ES3_N6thrust23THRUST_200600_302600_NS6detail15normal_iteratorINS9_10device_ptrIiEEEESE_iNS9_4plusIvEEiEEDaPvRmT3_T4_T5_mT6_P12ihipStream_tbENKUlT_T0_E_clISt17integral_constantIbLb0EEST_IbLb1EEEEDaSP_SQ_EUlSP_E_NS1_11comp_targetILNS1_3genE3ELNS1_11target_archE908ELNS1_3gpuE7ELNS1_3repE0EEENS1_30default_config_static_selectorELNS0_4arch9wavefront6targetE0EEEvT1_,comdat
.Lfunc_end71:
	.size	_ZN7rocprim17ROCPRIM_400000_NS6detail17trampoline_kernelINS0_14default_configENS1_20scan_config_selectorIiEEZZNS1_9scan_implILNS1_25lookback_scan_determinismE0ELb0ELb0ES3_N6thrust23THRUST_200600_302600_NS6detail15normal_iteratorINS9_10device_ptrIiEEEESE_iNS9_4plusIvEEiEEDaPvRmT3_T4_T5_mT6_P12ihipStream_tbENKUlT_T0_E_clISt17integral_constantIbLb0EEST_IbLb1EEEEDaSP_SQ_EUlSP_E_NS1_11comp_targetILNS1_3genE3ELNS1_11target_archE908ELNS1_3gpuE7ELNS1_3repE0EEENS1_30default_config_static_selectorELNS0_4arch9wavefront6targetE0EEEvT1_, .Lfunc_end71-_ZN7rocprim17ROCPRIM_400000_NS6detail17trampoline_kernelINS0_14default_configENS1_20scan_config_selectorIiEEZZNS1_9scan_implILNS1_25lookback_scan_determinismE0ELb0ELb0ES3_N6thrust23THRUST_200600_302600_NS6detail15normal_iteratorINS9_10device_ptrIiEEEESE_iNS9_4plusIvEEiEEDaPvRmT3_T4_T5_mT6_P12ihipStream_tbENKUlT_T0_E_clISt17integral_constantIbLb0EEST_IbLb1EEEEDaSP_SQ_EUlSP_E_NS1_11comp_targetILNS1_3genE3ELNS1_11target_archE908ELNS1_3gpuE7ELNS1_3repE0EEENS1_30default_config_static_selectorELNS0_4arch9wavefront6targetE0EEEvT1_
                                        ; -- End function
	.section	.AMDGPU.csdata,"",@progbits
; Kernel info:
; codeLenInByte = 0
; NumSgprs: 0
; NumVgprs: 0
; ScratchSize: 0
; MemoryBound: 0
; FloatMode: 240
; IeeeMode: 1
; LDSByteSize: 0 bytes/workgroup (compile time only)
; SGPRBlocks: 0
; VGPRBlocks: 0
; NumSGPRsForWavesPerEU: 1
; NumVGPRsForWavesPerEU: 1
; Occupancy: 16
; WaveLimiterHint : 0
; COMPUTE_PGM_RSRC2:SCRATCH_EN: 0
; COMPUTE_PGM_RSRC2:USER_SGPR: 15
; COMPUTE_PGM_RSRC2:TRAP_HANDLER: 0
; COMPUTE_PGM_RSRC2:TGID_X_EN: 1
; COMPUTE_PGM_RSRC2:TGID_Y_EN: 0
; COMPUTE_PGM_RSRC2:TGID_Z_EN: 0
; COMPUTE_PGM_RSRC2:TIDIG_COMP_CNT: 0
	.section	.text._ZN7rocprim17ROCPRIM_400000_NS6detail17trampoline_kernelINS0_14default_configENS1_20scan_config_selectorIiEEZZNS1_9scan_implILNS1_25lookback_scan_determinismE0ELb0ELb0ES3_N6thrust23THRUST_200600_302600_NS6detail15normal_iteratorINS9_10device_ptrIiEEEESE_iNS9_4plusIvEEiEEDaPvRmT3_T4_T5_mT6_P12ihipStream_tbENKUlT_T0_E_clISt17integral_constantIbLb0EEST_IbLb1EEEEDaSP_SQ_EUlSP_E_NS1_11comp_targetILNS1_3genE2ELNS1_11target_archE906ELNS1_3gpuE6ELNS1_3repE0EEENS1_30default_config_static_selectorELNS0_4arch9wavefront6targetE0EEEvT1_,"axG",@progbits,_ZN7rocprim17ROCPRIM_400000_NS6detail17trampoline_kernelINS0_14default_configENS1_20scan_config_selectorIiEEZZNS1_9scan_implILNS1_25lookback_scan_determinismE0ELb0ELb0ES3_N6thrust23THRUST_200600_302600_NS6detail15normal_iteratorINS9_10device_ptrIiEEEESE_iNS9_4plusIvEEiEEDaPvRmT3_T4_T5_mT6_P12ihipStream_tbENKUlT_T0_E_clISt17integral_constantIbLb0EEST_IbLb1EEEEDaSP_SQ_EUlSP_E_NS1_11comp_targetILNS1_3genE2ELNS1_11target_archE906ELNS1_3gpuE6ELNS1_3repE0EEENS1_30default_config_static_selectorELNS0_4arch9wavefront6targetE0EEEvT1_,comdat
	.protected	_ZN7rocprim17ROCPRIM_400000_NS6detail17trampoline_kernelINS0_14default_configENS1_20scan_config_selectorIiEEZZNS1_9scan_implILNS1_25lookback_scan_determinismE0ELb0ELb0ES3_N6thrust23THRUST_200600_302600_NS6detail15normal_iteratorINS9_10device_ptrIiEEEESE_iNS9_4plusIvEEiEEDaPvRmT3_T4_T5_mT6_P12ihipStream_tbENKUlT_T0_E_clISt17integral_constantIbLb0EEST_IbLb1EEEEDaSP_SQ_EUlSP_E_NS1_11comp_targetILNS1_3genE2ELNS1_11target_archE906ELNS1_3gpuE6ELNS1_3repE0EEENS1_30default_config_static_selectorELNS0_4arch9wavefront6targetE0EEEvT1_ ; -- Begin function _ZN7rocprim17ROCPRIM_400000_NS6detail17trampoline_kernelINS0_14default_configENS1_20scan_config_selectorIiEEZZNS1_9scan_implILNS1_25lookback_scan_determinismE0ELb0ELb0ES3_N6thrust23THRUST_200600_302600_NS6detail15normal_iteratorINS9_10device_ptrIiEEEESE_iNS9_4plusIvEEiEEDaPvRmT3_T4_T5_mT6_P12ihipStream_tbENKUlT_T0_E_clISt17integral_constantIbLb0EEST_IbLb1EEEEDaSP_SQ_EUlSP_E_NS1_11comp_targetILNS1_3genE2ELNS1_11target_archE906ELNS1_3gpuE6ELNS1_3repE0EEENS1_30default_config_static_selectorELNS0_4arch9wavefront6targetE0EEEvT1_
	.globl	_ZN7rocprim17ROCPRIM_400000_NS6detail17trampoline_kernelINS0_14default_configENS1_20scan_config_selectorIiEEZZNS1_9scan_implILNS1_25lookback_scan_determinismE0ELb0ELb0ES3_N6thrust23THRUST_200600_302600_NS6detail15normal_iteratorINS9_10device_ptrIiEEEESE_iNS9_4plusIvEEiEEDaPvRmT3_T4_T5_mT6_P12ihipStream_tbENKUlT_T0_E_clISt17integral_constantIbLb0EEST_IbLb1EEEEDaSP_SQ_EUlSP_E_NS1_11comp_targetILNS1_3genE2ELNS1_11target_archE906ELNS1_3gpuE6ELNS1_3repE0EEENS1_30default_config_static_selectorELNS0_4arch9wavefront6targetE0EEEvT1_
	.p2align	8
	.type	_ZN7rocprim17ROCPRIM_400000_NS6detail17trampoline_kernelINS0_14default_configENS1_20scan_config_selectorIiEEZZNS1_9scan_implILNS1_25lookback_scan_determinismE0ELb0ELb0ES3_N6thrust23THRUST_200600_302600_NS6detail15normal_iteratorINS9_10device_ptrIiEEEESE_iNS9_4plusIvEEiEEDaPvRmT3_T4_T5_mT6_P12ihipStream_tbENKUlT_T0_E_clISt17integral_constantIbLb0EEST_IbLb1EEEEDaSP_SQ_EUlSP_E_NS1_11comp_targetILNS1_3genE2ELNS1_11target_archE906ELNS1_3gpuE6ELNS1_3repE0EEENS1_30default_config_static_selectorELNS0_4arch9wavefront6targetE0EEEvT1_,@function
_ZN7rocprim17ROCPRIM_400000_NS6detail17trampoline_kernelINS0_14default_configENS1_20scan_config_selectorIiEEZZNS1_9scan_implILNS1_25lookback_scan_determinismE0ELb0ELb0ES3_N6thrust23THRUST_200600_302600_NS6detail15normal_iteratorINS9_10device_ptrIiEEEESE_iNS9_4plusIvEEiEEDaPvRmT3_T4_T5_mT6_P12ihipStream_tbENKUlT_T0_E_clISt17integral_constantIbLb0EEST_IbLb1EEEEDaSP_SQ_EUlSP_E_NS1_11comp_targetILNS1_3genE2ELNS1_11target_archE906ELNS1_3gpuE6ELNS1_3repE0EEENS1_30default_config_static_selectorELNS0_4arch9wavefront6targetE0EEEvT1_: ; @_ZN7rocprim17ROCPRIM_400000_NS6detail17trampoline_kernelINS0_14default_configENS1_20scan_config_selectorIiEEZZNS1_9scan_implILNS1_25lookback_scan_determinismE0ELb0ELb0ES3_N6thrust23THRUST_200600_302600_NS6detail15normal_iteratorINS9_10device_ptrIiEEEESE_iNS9_4plusIvEEiEEDaPvRmT3_T4_T5_mT6_P12ihipStream_tbENKUlT_T0_E_clISt17integral_constantIbLb0EEST_IbLb1EEEEDaSP_SQ_EUlSP_E_NS1_11comp_targetILNS1_3genE2ELNS1_11target_archE906ELNS1_3gpuE6ELNS1_3repE0EEENS1_30default_config_static_selectorELNS0_4arch9wavefront6targetE0EEEvT1_
; %bb.0:
	.section	.rodata,"a",@progbits
	.p2align	6, 0x0
	.amdhsa_kernel _ZN7rocprim17ROCPRIM_400000_NS6detail17trampoline_kernelINS0_14default_configENS1_20scan_config_selectorIiEEZZNS1_9scan_implILNS1_25lookback_scan_determinismE0ELb0ELb0ES3_N6thrust23THRUST_200600_302600_NS6detail15normal_iteratorINS9_10device_ptrIiEEEESE_iNS9_4plusIvEEiEEDaPvRmT3_T4_T5_mT6_P12ihipStream_tbENKUlT_T0_E_clISt17integral_constantIbLb0EEST_IbLb1EEEEDaSP_SQ_EUlSP_E_NS1_11comp_targetILNS1_3genE2ELNS1_11target_archE906ELNS1_3gpuE6ELNS1_3repE0EEENS1_30default_config_static_selectorELNS0_4arch9wavefront6targetE0EEEvT1_
		.amdhsa_group_segment_fixed_size 0
		.amdhsa_private_segment_fixed_size 0
		.amdhsa_kernarg_size 96
		.amdhsa_user_sgpr_count 15
		.amdhsa_user_sgpr_dispatch_ptr 0
		.amdhsa_user_sgpr_queue_ptr 0
		.amdhsa_user_sgpr_kernarg_segment_ptr 1
		.amdhsa_user_sgpr_dispatch_id 0
		.amdhsa_user_sgpr_private_segment_size 0
		.amdhsa_wavefront_size32 1
		.amdhsa_uses_dynamic_stack 0
		.amdhsa_enable_private_segment 0
		.amdhsa_system_sgpr_workgroup_id_x 1
		.amdhsa_system_sgpr_workgroup_id_y 0
		.amdhsa_system_sgpr_workgroup_id_z 0
		.amdhsa_system_sgpr_workgroup_info 0
		.amdhsa_system_vgpr_workitem_id 0
		.amdhsa_next_free_vgpr 1
		.amdhsa_next_free_sgpr 1
		.amdhsa_reserve_vcc 0
		.amdhsa_float_round_mode_32 0
		.amdhsa_float_round_mode_16_64 0
		.amdhsa_float_denorm_mode_32 3
		.amdhsa_float_denorm_mode_16_64 3
		.amdhsa_dx10_clamp 1
		.amdhsa_ieee_mode 1
		.amdhsa_fp16_overflow 0
		.amdhsa_workgroup_processor_mode 1
		.amdhsa_memory_ordered 1
		.amdhsa_forward_progress 0
		.amdhsa_shared_vgpr_count 0
		.amdhsa_exception_fp_ieee_invalid_op 0
		.amdhsa_exception_fp_denorm_src 0
		.amdhsa_exception_fp_ieee_div_zero 0
		.amdhsa_exception_fp_ieee_overflow 0
		.amdhsa_exception_fp_ieee_underflow 0
		.amdhsa_exception_fp_ieee_inexact 0
		.amdhsa_exception_int_div_zero 0
	.end_amdhsa_kernel
	.section	.text._ZN7rocprim17ROCPRIM_400000_NS6detail17trampoline_kernelINS0_14default_configENS1_20scan_config_selectorIiEEZZNS1_9scan_implILNS1_25lookback_scan_determinismE0ELb0ELb0ES3_N6thrust23THRUST_200600_302600_NS6detail15normal_iteratorINS9_10device_ptrIiEEEESE_iNS9_4plusIvEEiEEDaPvRmT3_T4_T5_mT6_P12ihipStream_tbENKUlT_T0_E_clISt17integral_constantIbLb0EEST_IbLb1EEEEDaSP_SQ_EUlSP_E_NS1_11comp_targetILNS1_3genE2ELNS1_11target_archE906ELNS1_3gpuE6ELNS1_3repE0EEENS1_30default_config_static_selectorELNS0_4arch9wavefront6targetE0EEEvT1_,"axG",@progbits,_ZN7rocprim17ROCPRIM_400000_NS6detail17trampoline_kernelINS0_14default_configENS1_20scan_config_selectorIiEEZZNS1_9scan_implILNS1_25lookback_scan_determinismE0ELb0ELb0ES3_N6thrust23THRUST_200600_302600_NS6detail15normal_iteratorINS9_10device_ptrIiEEEESE_iNS9_4plusIvEEiEEDaPvRmT3_T4_T5_mT6_P12ihipStream_tbENKUlT_T0_E_clISt17integral_constantIbLb0EEST_IbLb1EEEEDaSP_SQ_EUlSP_E_NS1_11comp_targetILNS1_3genE2ELNS1_11target_archE906ELNS1_3gpuE6ELNS1_3repE0EEENS1_30default_config_static_selectorELNS0_4arch9wavefront6targetE0EEEvT1_,comdat
.Lfunc_end72:
	.size	_ZN7rocprim17ROCPRIM_400000_NS6detail17trampoline_kernelINS0_14default_configENS1_20scan_config_selectorIiEEZZNS1_9scan_implILNS1_25lookback_scan_determinismE0ELb0ELb0ES3_N6thrust23THRUST_200600_302600_NS6detail15normal_iteratorINS9_10device_ptrIiEEEESE_iNS9_4plusIvEEiEEDaPvRmT3_T4_T5_mT6_P12ihipStream_tbENKUlT_T0_E_clISt17integral_constantIbLb0EEST_IbLb1EEEEDaSP_SQ_EUlSP_E_NS1_11comp_targetILNS1_3genE2ELNS1_11target_archE906ELNS1_3gpuE6ELNS1_3repE0EEENS1_30default_config_static_selectorELNS0_4arch9wavefront6targetE0EEEvT1_, .Lfunc_end72-_ZN7rocprim17ROCPRIM_400000_NS6detail17trampoline_kernelINS0_14default_configENS1_20scan_config_selectorIiEEZZNS1_9scan_implILNS1_25lookback_scan_determinismE0ELb0ELb0ES3_N6thrust23THRUST_200600_302600_NS6detail15normal_iteratorINS9_10device_ptrIiEEEESE_iNS9_4plusIvEEiEEDaPvRmT3_T4_T5_mT6_P12ihipStream_tbENKUlT_T0_E_clISt17integral_constantIbLb0EEST_IbLb1EEEEDaSP_SQ_EUlSP_E_NS1_11comp_targetILNS1_3genE2ELNS1_11target_archE906ELNS1_3gpuE6ELNS1_3repE0EEENS1_30default_config_static_selectorELNS0_4arch9wavefront6targetE0EEEvT1_
                                        ; -- End function
	.section	.AMDGPU.csdata,"",@progbits
; Kernel info:
; codeLenInByte = 0
; NumSgprs: 0
; NumVgprs: 0
; ScratchSize: 0
; MemoryBound: 0
; FloatMode: 240
; IeeeMode: 1
; LDSByteSize: 0 bytes/workgroup (compile time only)
; SGPRBlocks: 0
; VGPRBlocks: 0
; NumSGPRsForWavesPerEU: 1
; NumVGPRsForWavesPerEU: 1
; Occupancy: 16
; WaveLimiterHint : 0
; COMPUTE_PGM_RSRC2:SCRATCH_EN: 0
; COMPUTE_PGM_RSRC2:USER_SGPR: 15
; COMPUTE_PGM_RSRC2:TRAP_HANDLER: 0
; COMPUTE_PGM_RSRC2:TGID_X_EN: 1
; COMPUTE_PGM_RSRC2:TGID_Y_EN: 0
; COMPUTE_PGM_RSRC2:TGID_Z_EN: 0
; COMPUTE_PGM_RSRC2:TIDIG_COMP_CNT: 0
	.section	.text._ZN7rocprim17ROCPRIM_400000_NS6detail17trampoline_kernelINS0_14default_configENS1_20scan_config_selectorIiEEZZNS1_9scan_implILNS1_25lookback_scan_determinismE0ELb0ELb0ES3_N6thrust23THRUST_200600_302600_NS6detail15normal_iteratorINS9_10device_ptrIiEEEESE_iNS9_4plusIvEEiEEDaPvRmT3_T4_T5_mT6_P12ihipStream_tbENKUlT_T0_E_clISt17integral_constantIbLb0EEST_IbLb1EEEEDaSP_SQ_EUlSP_E_NS1_11comp_targetILNS1_3genE10ELNS1_11target_archE1201ELNS1_3gpuE5ELNS1_3repE0EEENS1_30default_config_static_selectorELNS0_4arch9wavefront6targetE0EEEvT1_,"axG",@progbits,_ZN7rocprim17ROCPRIM_400000_NS6detail17trampoline_kernelINS0_14default_configENS1_20scan_config_selectorIiEEZZNS1_9scan_implILNS1_25lookback_scan_determinismE0ELb0ELb0ES3_N6thrust23THRUST_200600_302600_NS6detail15normal_iteratorINS9_10device_ptrIiEEEESE_iNS9_4plusIvEEiEEDaPvRmT3_T4_T5_mT6_P12ihipStream_tbENKUlT_T0_E_clISt17integral_constantIbLb0EEST_IbLb1EEEEDaSP_SQ_EUlSP_E_NS1_11comp_targetILNS1_3genE10ELNS1_11target_archE1201ELNS1_3gpuE5ELNS1_3repE0EEENS1_30default_config_static_selectorELNS0_4arch9wavefront6targetE0EEEvT1_,comdat
	.protected	_ZN7rocprim17ROCPRIM_400000_NS6detail17trampoline_kernelINS0_14default_configENS1_20scan_config_selectorIiEEZZNS1_9scan_implILNS1_25lookback_scan_determinismE0ELb0ELb0ES3_N6thrust23THRUST_200600_302600_NS6detail15normal_iteratorINS9_10device_ptrIiEEEESE_iNS9_4plusIvEEiEEDaPvRmT3_T4_T5_mT6_P12ihipStream_tbENKUlT_T0_E_clISt17integral_constantIbLb0EEST_IbLb1EEEEDaSP_SQ_EUlSP_E_NS1_11comp_targetILNS1_3genE10ELNS1_11target_archE1201ELNS1_3gpuE5ELNS1_3repE0EEENS1_30default_config_static_selectorELNS0_4arch9wavefront6targetE0EEEvT1_ ; -- Begin function _ZN7rocprim17ROCPRIM_400000_NS6detail17trampoline_kernelINS0_14default_configENS1_20scan_config_selectorIiEEZZNS1_9scan_implILNS1_25lookback_scan_determinismE0ELb0ELb0ES3_N6thrust23THRUST_200600_302600_NS6detail15normal_iteratorINS9_10device_ptrIiEEEESE_iNS9_4plusIvEEiEEDaPvRmT3_T4_T5_mT6_P12ihipStream_tbENKUlT_T0_E_clISt17integral_constantIbLb0EEST_IbLb1EEEEDaSP_SQ_EUlSP_E_NS1_11comp_targetILNS1_3genE10ELNS1_11target_archE1201ELNS1_3gpuE5ELNS1_3repE0EEENS1_30default_config_static_selectorELNS0_4arch9wavefront6targetE0EEEvT1_
	.globl	_ZN7rocprim17ROCPRIM_400000_NS6detail17trampoline_kernelINS0_14default_configENS1_20scan_config_selectorIiEEZZNS1_9scan_implILNS1_25lookback_scan_determinismE0ELb0ELb0ES3_N6thrust23THRUST_200600_302600_NS6detail15normal_iteratorINS9_10device_ptrIiEEEESE_iNS9_4plusIvEEiEEDaPvRmT3_T4_T5_mT6_P12ihipStream_tbENKUlT_T0_E_clISt17integral_constantIbLb0EEST_IbLb1EEEEDaSP_SQ_EUlSP_E_NS1_11comp_targetILNS1_3genE10ELNS1_11target_archE1201ELNS1_3gpuE5ELNS1_3repE0EEENS1_30default_config_static_selectorELNS0_4arch9wavefront6targetE0EEEvT1_
	.p2align	8
	.type	_ZN7rocprim17ROCPRIM_400000_NS6detail17trampoline_kernelINS0_14default_configENS1_20scan_config_selectorIiEEZZNS1_9scan_implILNS1_25lookback_scan_determinismE0ELb0ELb0ES3_N6thrust23THRUST_200600_302600_NS6detail15normal_iteratorINS9_10device_ptrIiEEEESE_iNS9_4plusIvEEiEEDaPvRmT3_T4_T5_mT6_P12ihipStream_tbENKUlT_T0_E_clISt17integral_constantIbLb0EEST_IbLb1EEEEDaSP_SQ_EUlSP_E_NS1_11comp_targetILNS1_3genE10ELNS1_11target_archE1201ELNS1_3gpuE5ELNS1_3repE0EEENS1_30default_config_static_selectorELNS0_4arch9wavefront6targetE0EEEvT1_,@function
_ZN7rocprim17ROCPRIM_400000_NS6detail17trampoline_kernelINS0_14default_configENS1_20scan_config_selectorIiEEZZNS1_9scan_implILNS1_25lookback_scan_determinismE0ELb0ELb0ES3_N6thrust23THRUST_200600_302600_NS6detail15normal_iteratorINS9_10device_ptrIiEEEESE_iNS9_4plusIvEEiEEDaPvRmT3_T4_T5_mT6_P12ihipStream_tbENKUlT_T0_E_clISt17integral_constantIbLb0EEST_IbLb1EEEEDaSP_SQ_EUlSP_E_NS1_11comp_targetILNS1_3genE10ELNS1_11target_archE1201ELNS1_3gpuE5ELNS1_3repE0EEENS1_30default_config_static_selectorELNS0_4arch9wavefront6targetE0EEEvT1_: ; @_ZN7rocprim17ROCPRIM_400000_NS6detail17trampoline_kernelINS0_14default_configENS1_20scan_config_selectorIiEEZZNS1_9scan_implILNS1_25lookback_scan_determinismE0ELb0ELb0ES3_N6thrust23THRUST_200600_302600_NS6detail15normal_iteratorINS9_10device_ptrIiEEEESE_iNS9_4plusIvEEiEEDaPvRmT3_T4_T5_mT6_P12ihipStream_tbENKUlT_T0_E_clISt17integral_constantIbLb0EEST_IbLb1EEEEDaSP_SQ_EUlSP_E_NS1_11comp_targetILNS1_3genE10ELNS1_11target_archE1201ELNS1_3gpuE5ELNS1_3repE0EEENS1_30default_config_static_selectorELNS0_4arch9wavefront6targetE0EEEvT1_
; %bb.0:
	.section	.rodata,"a",@progbits
	.p2align	6, 0x0
	.amdhsa_kernel _ZN7rocprim17ROCPRIM_400000_NS6detail17trampoline_kernelINS0_14default_configENS1_20scan_config_selectorIiEEZZNS1_9scan_implILNS1_25lookback_scan_determinismE0ELb0ELb0ES3_N6thrust23THRUST_200600_302600_NS6detail15normal_iteratorINS9_10device_ptrIiEEEESE_iNS9_4plusIvEEiEEDaPvRmT3_T4_T5_mT6_P12ihipStream_tbENKUlT_T0_E_clISt17integral_constantIbLb0EEST_IbLb1EEEEDaSP_SQ_EUlSP_E_NS1_11comp_targetILNS1_3genE10ELNS1_11target_archE1201ELNS1_3gpuE5ELNS1_3repE0EEENS1_30default_config_static_selectorELNS0_4arch9wavefront6targetE0EEEvT1_
		.amdhsa_group_segment_fixed_size 0
		.amdhsa_private_segment_fixed_size 0
		.amdhsa_kernarg_size 96
		.amdhsa_user_sgpr_count 15
		.amdhsa_user_sgpr_dispatch_ptr 0
		.amdhsa_user_sgpr_queue_ptr 0
		.amdhsa_user_sgpr_kernarg_segment_ptr 1
		.amdhsa_user_sgpr_dispatch_id 0
		.amdhsa_user_sgpr_private_segment_size 0
		.amdhsa_wavefront_size32 1
		.amdhsa_uses_dynamic_stack 0
		.amdhsa_enable_private_segment 0
		.amdhsa_system_sgpr_workgroup_id_x 1
		.amdhsa_system_sgpr_workgroup_id_y 0
		.amdhsa_system_sgpr_workgroup_id_z 0
		.amdhsa_system_sgpr_workgroup_info 0
		.amdhsa_system_vgpr_workitem_id 0
		.amdhsa_next_free_vgpr 1
		.amdhsa_next_free_sgpr 1
		.amdhsa_reserve_vcc 0
		.amdhsa_float_round_mode_32 0
		.amdhsa_float_round_mode_16_64 0
		.amdhsa_float_denorm_mode_32 3
		.amdhsa_float_denorm_mode_16_64 3
		.amdhsa_dx10_clamp 1
		.amdhsa_ieee_mode 1
		.amdhsa_fp16_overflow 0
		.amdhsa_workgroup_processor_mode 1
		.amdhsa_memory_ordered 1
		.amdhsa_forward_progress 0
		.amdhsa_shared_vgpr_count 0
		.amdhsa_exception_fp_ieee_invalid_op 0
		.amdhsa_exception_fp_denorm_src 0
		.amdhsa_exception_fp_ieee_div_zero 0
		.amdhsa_exception_fp_ieee_overflow 0
		.amdhsa_exception_fp_ieee_underflow 0
		.amdhsa_exception_fp_ieee_inexact 0
		.amdhsa_exception_int_div_zero 0
	.end_amdhsa_kernel
	.section	.text._ZN7rocprim17ROCPRIM_400000_NS6detail17trampoline_kernelINS0_14default_configENS1_20scan_config_selectorIiEEZZNS1_9scan_implILNS1_25lookback_scan_determinismE0ELb0ELb0ES3_N6thrust23THRUST_200600_302600_NS6detail15normal_iteratorINS9_10device_ptrIiEEEESE_iNS9_4plusIvEEiEEDaPvRmT3_T4_T5_mT6_P12ihipStream_tbENKUlT_T0_E_clISt17integral_constantIbLb0EEST_IbLb1EEEEDaSP_SQ_EUlSP_E_NS1_11comp_targetILNS1_3genE10ELNS1_11target_archE1201ELNS1_3gpuE5ELNS1_3repE0EEENS1_30default_config_static_selectorELNS0_4arch9wavefront6targetE0EEEvT1_,"axG",@progbits,_ZN7rocprim17ROCPRIM_400000_NS6detail17trampoline_kernelINS0_14default_configENS1_20scan_config_selectorIiEEZZNS1_9scan_implILNS1_25lookback_scan_determinismE0ELb0ELb0ES3_N6thrust23THRUST_200600_302600_NS6detail15normal_iteratorINS9_10device_ptrIiEEEESE_iNS9_4plusIvEEiEEDaPvRmT3_T4_T5_mT6_P12ihipStream_tbENKUlT_T0_E_clISt17integral_constantIbLb0EEST_IbLb1EEEEDaSP_SQ_EUlSP_E_NS1_11comp_targetILNS1_3genE10ELNS1_11target_archE1201ELNS1_3gpuE5ELNS1_3repE0EEENS1_30default_config_static_selectorELNS0_4arch9wavefront6targetE0EEEvT1_,comdat
.Lfunc_end73:
	.size	_ZN7rocprim17ROCPRIM_400000_NS6detail17trampoline_kernelINS0_14default_configENS1_20scan_config_selectorIiEEZZNS1_9scan_implILNS1_25lookback_scan_determinismE0ELb0ELb0ES3_N6thrust23THRUST_200600_302600_NS6detail15normal_iteratorINS9_10device_ptrIiEEEESE_iNS9_4plusIvEEiEEDaPvRmT3_T4_T5_mT6_P12ihipStream_tbENKUlT_T0_E_clISt17integral_constantIbLb0EEST_IbLb1EEEEDaSP_SQ_EUlSP_E_NS1_11comp_targetILNS1_3genE10ELNS1_11target_archE1201ELNS1_3gpuE5ELNS1_3repE0EEENS1_30default_config_static_selectorELNS0_4arch9wavefront6targetE0EEEvT1_, .Lfunc_end73-_ZN7rocprim17ROCPRIM_400000_NS6detail17trampoline_kernelINS0_14default_configENS1_20scan_config_selectorIiEEZZNS1_9scan_implILNS1_25lookback_scan_determinismE0ELb0ELb0ES3_N6thrust23THRUST_200600_302600_NS6detail15normal_iteratorINS9_10device_ptrIiEEEESE_iNS9_4plusIvEEiEEDaPvRmT3_T4_T5_mT6_P12ihipStream_tbENKUlT_T0_E_clISt17integral_constantIbLb0EEST_IbLb1EEEEDaSP_SQ_EUlSP_E_NS1_11comp_targetILNS1_3genE10ELNS1_11target_archE1201ELNS1_3gpuE5ELNS1_3repE0EEENS1_30default_config_static_selectorELNS0_4arch9wavefront6targetE0EEEvT1_
                                        ; -- End function
	.section	.AMDGPU.csdata,"",@progbits
; Kernel info:
; codeLenInByte = 0
; NumSgprs: 0
; NumVgprs: 0
; ScratchSize: 0
; MemoryBound: 0
; FloatMode: 240
; IeeeMode: 1
; LDSByteSize: 0 bytes/workgroup (compile time only)
; SGPRBlocks: 0
; VGPRBlocks: 0
; NumSGPRsForWavesPerEU: 1
; NumVGPRsForWavesPerEU: 1
; Occupancy: 16
; WaveLimiterHint : 0
; COMPUTE_PGM_RSRC2:SCRATCH_EN: 0
; COMPUTE_PGM_RSRC2:USER_SGPR: 15
; COMPUTE_PGM_RSRC2:TRAP_HANDLER: 0
; COMPUTE_PGM_RSRC2:TGID_X_EN: 1
; COMPUTE_PGM_RSRC2:TGID_Y_EN: 0
; COMPUTE_PGM_RSRC2:TGID_Z_EN: 0
; COMPUTE_PGM_RSRC2:TIDIG_COMP_CNT: 0
	.section	.text._ZN7rocprim17ROCPRIM_400000_NS6detail17trampoline_kernelINS0_14default_configENS1_20scan_config_selectorIiEEZZNS1_9scan_implILNS1_25lookback_scan_determinismE0ELb0ELb0ES3_N6thrust23THRUST_200600_302600_NS6detail15normal_iteratorINS9_10device_ptrIiEEEESE_iNS9_4plusIvEEiEEDaPvRmT3_T4_T5_mT6_P12ihipStream_tbENKUlT_T0_E_clISt17integral_constantIbLb0EEST_IbLb1EEEEDaSP_SQ_EUlSP_E_NS1_11comp_targetILNS1_3genE10ELNS1_11target_archE1200ELNS1_3gpuE4ELNS1_3repE0EEENS1_30default_config_static_selectorELNS0_4arch9wavefront6targetE0EEEvT1_,"axG",@progbits,_ZN7rocprim17ROCPRIM_400000_NS6detail17trampoline_kernelINS0_14default_configENS1_20scan_config_selectorIiEEZZNS1_9scan_implILNS1_25lookback_scan_determinismE0ELb0ELb0ES3_N6thrust23THRUST_200600_302600_NS6detail15normal_iteratorINS9_10device_ptrIiEEEESE_iNS9_4plusIvEEiEEDaPvRmT3_T4_T5_mT6_P12ihipStream_tbENKUlT_T0_E_clISt17integral_constantIbLb0EEST_IbLb1EEEEDaSP_SQ_EUlSP_E_NS1_11comp_targetILNS1_3genE10ELNS1_11target_archE1200ELNS1_3gpuE4ELNS1_3repE0EEENS1_30default_config_static_selectorELNS0_4arch9wavefront6targetE0EEEvT1_,comdat
	.protected	_ZN7rocprim17ROCPRIM_400000_NS6detail17trampoline_kernelINS0_14default_configENS1_20scan_config_selectorIiEEZZNS1_9scan_implILNS1_25lookback_scan_determinismE0ELb0ELb0ES3_N6thrust23THRUST_200600_302600_NS6detail15normal_iteratorINS9_10device_ptrIiEEEESE_iNS9_4plusIvEEiEEDaPvRmT3_T4_T5_mT6_P12ihipStream_tbENKUlT_T0_E_clISt17integral_constantIbLb0EEST_IbLb1EEEEDaSP_SQ_EUlSP_E_NS1_11comp_targetILNS1_3genE10ELNS1_11target_archE1200ELNS1_3gpuE4ELNS1_3repE0EEENS1_30default_config_static_selectorELNS0_4arch9wavefront6targetE0EEEvT1_ ; -- Begin function _ZN7rocprim17ROCPRIM_400000_NS6detail17trampoline_kernelINS0_14default_configENS1_20scan_config_selectorIiEEZZNS1_9scan_implILNS1_25lookback_scan_determinismE0ELb0ELb0ES3_N6thrust23THRUST_200600_302600_NS6detail15normal_iteratorINS9_10device_ptrIiEEEESE_iNS9_4plusIvEEiEEDaPvRmT3_T4_T5_mT6_P12ihipStream_tbENKUlT_T0_E_clISt17integral_constantIbLb0EEST_IbLb1EEEEDaSP_SQ_EUlSP_E_NS1_11comp_targetILNS1_3genE10ELNS1_11target_archE1200ELNS1_3gpuE4ELNS1_3repE0EEENS1_30default_config_static_selectorELNS0_4arch9wavefront6targetE0EEEvT1_
	.globl	_ZN7rocprim17ROCPRIM_400000_NS6detail17trampoline_kernelINS0_14default_configENS1_20scan_config_selectorIiEEZZNS1_9scan_implILNS1_25lookback_scan_determinismE0ELb0ELb0ES3_N6thrust23THRUST_200600_302600_NS6detail15normal_iteratorINS9_10device_ptrIiEEEESE_iNS9_4plusIvEEiEEDaPvRmT3_T4_T5_mT6_P12ihipStream_tbENKUlT_T0_E_clISt17integral_constantIbLb0EEST_IbLb1EEEEDaSP_SQ_EUlSP_E_NS1_11comp_targetILNS1_3genE10ELNS1_11target_archE1200ELNS1_3gpuE4ELNS1_3repE0EEENS1_30default_config_static_selectorELNS0_4arch9wavefront6targetE0EEEvT1_
	.p2align	8
	.type	_ZN7rocprim17ROCPRIM_400000_NS6detail17trampoline_kernelINS0_14default_configENS1_20scan_config_selectorIiEEZZNS1_9scan_implILNS1_25lookback_scan_determinismE0ELb0ELb0ES3_N6thrust23THRUST_200600_302600_NS6detail15normal_iteratorINS9_10device_ptrIiEEEESE_iNS9_4plusIvEEiEEDaPvRmT3_T4_T5_mT6_P12ihipStream_tbENKUlT_T0_E_clISt17integral_constantIbLb0EEST_IbLb1EEEEDaSP_SQ_EUlSP_E_NS1_11comp_targetILNS1_3genE10ELNS1_11target_archE1200ELNS1_3gpuE4ELNS1_3repE0EEENS1_30default_config_static_selectorELNS0_4arch9wavefront6targetE0EEEvT1_,@function
_ZN7rocprim17ROCPRIM_400000_NS6detail17trampoline_kernelINS0_14default_configENS1_20scan_config_selectorIiEEZZNS1_9scan_implILNS1_25lookback_scan_determinismE0ELb0ELb0ES3_N6thrust23THRUST_200600_302600_NS6detail15normal_iteratorINS9_10device_ptrIiEEEESE_iNS9_4plusIvEEiEEDaPvRmT3_T4_T5_mT6_P12ihipStream_tbENKUlT_T0_E_clISt17integral_constantIbLb0EEST_IbLb1EEEEDaSP_SQ_EUlSP_E_NS1_11comp_targetILNS1_3genE10ELNS1_11target_archE1200ELNS1_3gpuE4ELNS1_3repE0EEENS1_30default_config_static_selectorELNS0_4arch9wavefront6targetE0EEEvT1_: ; @_ZN7rocprim17ROCPRIM_400000_NS6detail17trampoline_kernelINS0_14default_configENS1_20scan_config_selectorIiEEZZNS1_9scan_implILNS1_25lookback_scan_determinismE0ELb0ELb0ES3_N6thrust23THRUST_200600_302600_NS6detail15normal_iteratorINS9_10device_ptrIiEEEESE_iNS9_4plusIvEEiEEDaPvRmT3_T4_T5_mT6_P12ihipStream_tbENKUlT_T0_E_clISt17integral_constantIbLb0EEST_IbLb1EEEEDaSP_SQ_EUlSP_E_NS1_11comp_targetILNS1_3genE10ELNS1_11target_archE1200ELNS1_3gpuE4ELNS1_3repE0EEENS1_30default_config_static_selectorELNS0_4arch9wavefront6targetE0EEEvT1_
; %bb.0:
	.section	.rodata,"a",@progbits
	.p2align	6, 0x0
	.amdhsa_kernel _ZN7rocprim17ROCPRIM_400000_NS6detail17trampoline_kernelINS0_14default_configENS1_20scan_config_selectorIiEEZZNS1_9scan_implILNS1_25lookback_scan_determinismE0ELb0ELb0ES3_N6thrust23THRUST_200600_302600_NS6detail15normal_iteratorINS9_10device_ptrIiEEEESE_iNS9_4plusIvEEiEEDaPvRmT3_T4_T5_mT6_P12ihipStream_tbENKUlT_T0_E_clISt17integral_constantIbLb0EEST_IbLb1EEEEDaSP_SQ_EUlSP_E_NS1_11comp_targetILNS1_3genE10ELNS1_11target_archE1200ELNS1_3gpuE4ELNS1_3repE0EEENS1_30default_config_static_selectorELNS0_4arch9wavefront6targetE0EEEvT1_
		.amdhsa_group_segment_fixed_size 0
		.amdhsa_private_segment_fixed_size 0
		.amdhsa_kernarg_size 96
		.amdhsa_user_sgpr_count 15
		.amdhsa_user_sgpr_dispatch_ptr 0
		.amdhsa_user_sgpr_queue_ptr 0
		.amdhsa_user_sgpr_kernarg_segment_ptr 1
		.amdhsa_user_sgpr_dispatch_id 0
		.amdhsa_user_sgpr_private_segment_size 0
		.amdhsa_wavefront_size32 1
		.amdhsa_uses_dynamic_stack 0
		.amdhsa_enable_private_segment 0
		.amdhsa_system_sgpr_workgroup_id_x 1
		.amdhsa_system_sgpr_workgroup_id_y 0
		.amdhsa_system_sgpr_workgroup_id_z 0
		.amdhsa_system_sgpr_workgroup_info 0
		.amdhsa_system_vgpr_workitem_id 0
		.amdhsa_next_free_vgpr 1
		.amdhsa_next_free_sgpr 1
		.amdhsa_reserve_vcc 0
		.amdhsa_float_round_mode_32 0
		.amdhsa_float_round_mode_16_64 0
		.amdhsa_float_denorm_mode_32 3
		.amdhsa_float_denorm_mode_16_64 3
		.amdhsa_dx10_clamp 1
		.amdhsa_ieee_mode 1
		.amdhsa_fp16_overflow 0
		.amdhsa_workgroup_processor_mode 1
		.amdhsa_memory_ordered 1
		.amdhsa_forward_progress 0
		.amdhsa_shared_vgpr_count 0
		.amdhsa_exception_fp_ieee_invalid_op 0
		.amdhsa_exception_fp_denorm_src 0
		.amdhsa_exception_fp_ieee_div_zero 0
		.amdhsa_exception_fp_ieee_overflow 0
		.amdhsa_exception_fp_ieee_underflow 0
		.amdhsa_exception_fp_ieee_inexact 0
		.amdhsa_exception_int_div_zero 0
	.end_amdhsa_kernel
	.section	.text._ZN7rocprim17ROCPRIM_400000_NS6detail17trampoline_kernelINS0_14default_configENS1_20scan_config_selectorIiEEZZNS1_9scan_implILNS1_25lookback_scan_determinismE0ELb0ELb0ES3_N6thrust23THRUST_200600_302600_NS6detail15normal_iteratorINS9_10device_ptrIiEEEESE_iNS9_4plusIvEEiEEDaPvRmT3_T4_T5_mT6_P12ihipStream_tbENKUlT_T0_E_clISt17integral_constantIbLb0EEST_IbLb1EEEEDaSP_SQ_EUlSP_E_NS1_11comp_targetILNS1_3genE10ELNS1_11target_archE1200ELNS1_3gpuE4ELNS1_3repE0EEENS1_30default_config_static_selectorELNS0_4arch9wavefront6targetE0EEEvT1_,"axG",@progbits,_ZN7rocprim17ROCPRIM_400000_NS6detail17trampoline_kernelINS0_14default_configENS1_20scan_config_selectorIiEEZZNS1_9scan_implILNS1_25lookback_scan_determinismE0ELb0ELb0ES3_N6thrust23THRUST_200600_302600_NS6detail15normal_iteratorINS9_10device_ptrIiEEEESE_iNS9_4plusIvEEiEEDaPvRmT3_T4_T5_mT6_P12ihipStream_tbENKUlT_T0_E_clISt17integral_constantIbLb0EEST_IbLb1EEEEDaSP_SQ_EUlSP_E_NS1_11comp_targetILNS1_3genE10ELNS1_11target_archE1200ELNS1_3gpuE4ELNS1_3repE0EEENS1_30default_config_static_selectorELNS0_4arch9wavefront6targetE0EEEvT1_,comdat
.Lfunc_end74:
	.size	_ZN7rocprim17ROCPRIM_400000_NS6detail17trampoline_kernelINS0_14default_configENS1_20scan_config_selectorIiEEZZNS1_9scan_implILNS1_25lookback_scan_determinismE0ELb0ELb0ES3_N6thrust23THRUST_200600_302600_NS6detail15normal_iteratorINS9_10device_ptrIiEEEESE_iNS9_4plusIvEEiEEDaPvRmT3_T4_T5_mT6_P12ihipStream_tbENKUlT_T0_E_clISt17integral_constantIbLb0EEST_IbLb1EEEEDaSP_SQ_EUlSP_E_NS1_11comp_targetILNS1_3genE10ELNS1_11target_archE1200ELNS1_3gpuE4ELNS1_3repE0EEENS1_30default_config_static_selectorELNS0_4arch9wavefront6targetE0EEEvT1_, .Lfunc_end74-_ZN7rocprim17ROCPRIM_400000_NS6detail17trampoline_kernelINS0_14default_configENS1_20scan_config_selectorIiEEZZNS1_9scan_implILNS1_25lookback_scan_determinismE0ELb0ELb0ES3_N6thrust23THRUST_200600_302600_NS6detail15normal_iteratorINS9_10device_ptrIiEEEESE_iNS9_4plusIvEEiEEDaPvRmT3_T4_T5_mT6_P12ihipStream_tbENKUlT_T0_E_clISt17integral_constantIbLb0EEST_IbLb1EEEEDaSP_SQ_EUlSP_E_NS1_11comp_targetILNS1_3genE10ELNS1_11target_archE1200ELNS1_3gpuE4ELNS1_3repE0EEENS1_30default_config_static_selectorELNS0_4arch9wavefront6targetE0EEEvT1_
                                        ; -- End function
	.section	.AMDGPU.csdata,"",@progbits
; Kernel info:
; codeLenInByte = 0
; NumSgprs: 0
; NumVgprs: 0
; ScratchSize: 0
; MemoryBound: 0
; FloatMode: 240
; IeeeMode: 1
; LDSByteSize: 0 bytes/workgroup (compile time only)
; SGPRBlocks: 0
; VGPRBlocks: 0
; NumSGPRsForWavesPerEU: 1
; NumVGPRsForWavesPerEU: 1
; Occupancy: 16
; WaveLimiterHint : 0
; COMPUTE_PGM_RSRC2:SCRATCH_EN: 0
; COMPUTE_PGM_RSRC2:USER_SGPR: 15
; COMPUTE_PGM_RSRC2:TRAP_HANDLER: 0
; COMPUTE_PGM_RSRC2:TGID_X_EN: 1
; COMPUTE_PGM_RSRC2:TGID_Y_EN: 0
; COMPUTE_PGM_RSRC2:TGID_Z_EN: 0
; COMPUTE_PGM_RSRC2:TIDIG_COMP_CNT: 0
	.section	.text._ZN7rocprim17ROCPRIM_400000_NS6detail17trampoline_kernelINS0_14default_configENS1_20scan_config_selectorIiEEZZNS1_9scan_implILNS1_25lookback_scan_determinismE0ELb0ELb0ES3_N6thrust23THRUST_200600_302600_NS6detail15normal_iteratorINS9_10device_ptrIiEEEESE_iNS9_4plusIvEEiEEDaPvRmT3_T4_T5_mT6_P12ihipStream_tbENKUlT_T0_E_clISt17integral_constantIbLb0EEST_IbLb1EEEEDaSP_SQ_EUlSP_E_NS1_11comp_targetILNS1_3genE9ELNS1_11target_archE1100ELNS1_3gpuE3ELNS1_3repE0EEENS1_30default_config_static_selectorELNS0_4arch9wavefront6targetE0EEEvT1_,"axG",@progbits,_ZN7rocprim17ROCPRIM_400000_NS6detail17trampoline_kernelINS0_14default_configENS1_20scan_config_selectorIiEEZZNS1_9scan_implILNS1_25lookback_scan_determinismE0ELb0ELb0ES3_N6thrust23THRUST_200600_302600_NS6detail15normal_iteratorINS9_10device_ptrIiEEEESE_iNS9_4plusIvEEiEEDaPvRmT3_T4_T5_mT6_P12ihipStream_tbENKUlT_T0_E_clISt17integral_constantIbLb0EEST_IbLb1EEEEDaSP_SQ_EUlSP_E_NS1_11comp_targetILNS1_3genE9ELNS1_11target_archE1100ELNS1_3gpuE3ELNS1_3repE0EEENS1_30default_config_static_selectorELNS0_4arch9wavefront6targetE0EEEvT1_,comdat
	.protected	_ZN7rocprim17ROCPRIM_400000_NS6detail17trampoline_kernelINS0_14default_configENS1_20scan_config_selectorIiEEZZNS1_9scan_implILNS1_25lookback_scan_determinismE0ELb0ELb0ES3_N6thrust23THRUST_200600_302600_NS6detail15normal_iteratorINS9_10device_ptrIiEEEESE_iNS9_4plusIvEEiEEDaPvRmT3_T4_T5_mT6_P12ihipStream_tbENKUlT_T0_E_clISt17integral_constantIbLb0EEST_IbLb1EEEEDaSP_SQ_EUlSP_E_NS1_11comp_targetILNS1_3genE9ELNS1_11target_archE1100ELNS1_3gpuE3ELNS1_3repE0EEENS1_30default_config_static_selectorELNS0_4arch9wavefront6targetE0EEEvT1_ ; -- Begin function _ZN7rocprim17ROCPRIM_400000_NS6detail17trampoline_kernelINS0_14default_configENS1_20scan_config_selectorIiEEZZNS1_9scan_implILNS1_25lookback_scan_determinismE0ELb0ELb0ES3_N6thrust23THRUST_200600_302600_NS6detail15normal_iteratorINS9_10device_ptrIiEEEESE_iNS9_4plusIvEEiEEDaPvRmT3_T4_T5_mT6_P12ihipStream_tbENKUlT_T0_E_clISt17integral_constantIbLb0EEST_IbLb1EEEEDaSP_SQ_EUlSP_E_NS1_11comp_targetILNS1_3genE9ELNS1_11target_archE1100ELNS1_3gpuE3ELNS1_3repE0EEENS1_30default_config_static_selectorELNS0_4arch9wavefront6targetE0EEEvT1_
	.globl	_ZN7rocprim17ROCPRIM_400000_NS6detail17trampoline_kernelINS0_14default_configENS1_20scan_config_selectorIiEEZZNS1_9scan_implILNS1_25lookback_scan_determinismE0ELb0ELb0ES3_N6thrust23THRUST_200600_302600_NS6detail15normal_iteratorINS9_10device_ptrIiEEEESE_iNS9_4plusIvEEiEEDaPvRmT3_T4_T5_mT6_P12ihipStream_tbENKUlT_T0_E_clISt17integral_constantIbLb0EEST_IbLb1EEEEDaSP_SQ_EUlSP_E_NS1_11comp_targetILNS1_3genE9ELNS1_11target_archE1100ELNS1_3gpuE3ELNS1_3repE0EEENS1_30default_config_static_selectorELNS0_4arch9wavefront6targetE0EEEvT1_
	.p2align	8
	.type	_ZN7rocprim17ROCPRIM_400000_NS6detail17trampoline_kernelINS0_14default_configENS1_20scan_config_selectorIiEEZZNS1_9scan_implILNS1_25lookback_scan_determinismE0ELb0ELb0ES3_N6thrust23THRUST_200600_302600_NS6detail15normal_iteratorINS9_10device_ptrIiEEEESE_iNS9_4plusIvEEiEEDaPvRmT3_T4_T5_mT6_P12ihipStream_tbENKUlT_T0_E_clISt17integral_constantIbLb0EEST_IbLb1EEEEDaSP_SQ_EUlSP_E_NS1_11comp_targetILNS1_3genE9ELNS1_11target_archE1100ELNS1_3gpuE3ELNS1_3repE0EEENS1_30default_config_static_selectorELNS0_4arch9wavefront6targetE0EEEvT1_,@function
_ZN7rocprim17ROCPRIM_400000_NS6detail17trampoline_kernelINS0_14default_configENS1_20scan_config_selectorIiEEZZNS1_9scan_implILNS1_25lookback_scan_determinismE0ELb0ELb0ES3_N6thrust23THRUST_200600_302600_NS6detail15normal_iteratorINS9_10device_ptrIiEEEESE_iNS9_4plusIvEEiEEDaPvRmT3_T4_T5_mT6_P12ihipStream_tbENKUlT_T0_E_clISt17integral_constantIbLb0EEST_IbLb1EEEEDaSP_SQ_EUlSP_E_NS1_11comp_targetILNS1_3genE9ELNS1_11target_archE1100ELNS1_3gpuE3ELNS1_3repE0EEENS1_30default_config_static_selectorELNS0_4arch9wavefront6targetE0EEEvT1_: ; @_ZN7rocprim17ROCPRIM_400000_NS6detail17trampoline_kernelINS0_14default_configENS1_20scan_config_selectorIiEEZZNS1_9scan_implILNS1_25lookback_scan_determinismE0ELb0ELb0ES3_N6thrust23THRUST_200600_302600_NS6detail15normal_iteratorINS9_10device_ptrIiEEEESE_iNS9_4plusIvEEiEEDaPvRmT3_T4_T5_mT6_P12ihipStream_tbENKUlT_T0_E_clISt17integral_constantIbLb0EEST_IbLb1EEEEDaSP_SQ_EUlSP_E_NS1_11comp_targetILNS1_3genE9ELNS1_11target_archE1100ELNS1_3gpuE3ELNS1_3repE0EEENS1_30default_config_static_selectorELNS0_4arch9wavefront6targetE0EEEvT1_
; %bb.0:
	s_load_b64 s[20:21], s[0:1], 0x28
	v_cmp_ne_u32_e64 s2, 0, v0
	v_cmp_eq_u32_e64 s3, 0, v0
	s_delay_alu instid0(VALU_DEP_1)
	s_and_saveexec_b32 s4, s3
	s_cbranch_execz .LBB75_4
; %bb.1:
	s_mov_b32 s6, exec_lo
	s_mov_b32 s5, exec_lo
	v_mbcnt_lo_u32_b32 v1, s6, 0
                                        ; implicit-def: $vgpr2
	s_delay_alu instid0(VALU_DEP_1)
	v_cmpx_eq_u32_e32 0, v1
	s_cbranch_execz .LBB75_3
; %bb.2:
	s_load_b64 s[8:9], s[0:1], 0x58
	s_bcnt1_i32_b32 s6, s6
	s_delay_alu instid0(SALU_CYCLE_1)
	v_dual_mov_b32 v2, 0 :: v_dual_mov_b32 v3, s6
	s_waitcnt lgkmcnt(0)
	global_atomic_add_u32 v2, v2, v3, s[8:9] glc
.LBB75_3:
	s_or_b32 exec_lo, exec_lo, s5
	s_waitcnt vmcnt(0)
	v_readfirstlane_b32 s5, v2
	s_delay_alu instid0(VALU_DEP_1)
	v_dual_mov_b32 v2, 0 :: v_dual_add_nc_u32 v1, s5, v1
	ds_store_b32 v2, v1
.LBB75_4:
	s_or_b32 exec_lo, exec_lo, s4
	v_mov_b32_e32 v1, 0
	s_clause 0x2
	s_load_b256 s[12:19], s[0:1], 0x0
	s_load_b32 s22, s[0:1], 0x30
	s_load_b256 s[4:11], s[0:1], 0x38
	s_waitcnt lgkmcnt(0)
	s_barrier
	buffer_gl0_inv
	ds_load_b32 v1, v1
	s_mov_b32 s27, 0
	v_lshlrev_b32_e32 v15, 2, v0
	v_lshrrev_b32_e32 v16, 3, v0
	v_or_b32_e32 v14, 0x100, v0
	v_or_b32_e32 v12, 0x200, v0
	;; [unrolled: 1-line block ×3, first 2 shown]
	s_waitcnt lgkmcnt(0)
	s_barrier
	buffer_gl0_inv
	s_lshl_b64 s[14:15], s[14:15], 2
	s_delay_alu instid0(SALU_CYCLE_1) | instskip(SKIP_2) | instid1(SALU_CYCLE_1)
	s_add_u32 s1, s12, s14
	s_addc_u32 s25, s13, s15
	s_add_i32 s22, s22, -1
	s_lshl_b32 s12, s22, 10
	v_readfirstlane_b32 s24, v1
	v_cmp_ne_u32_e64 s0, s22, v1
	s_delay_alu instid0(VALU_DEP_2) | instskip(SKIP_3) | instid1(SALU_CYCLE_1)
	s_lshl_b32 s26, s24, 10
	s_sub_u32 s22, s18, s12
	s_subb_u32 s23, s19, 0
	s_lshl_b64 s[12:13], s[26:27], 2
	s_add_u32 s18, s1, s12
	s_addc_u32 s19, s25, s13
	s_and_b32 vcc_lo, exec_lo, s0
	s_mov_b32 s25, -1
	s_cbranch_vccz .LBB75_6
; %bb.5:
	v_add_co_u32 v1, s1, s18, v15
	s_delay_alu instid0(VALU_DEP_1)
	v_add_co_ci_u32_e64 v2, null, s19, 0, s1
	v_lshrrev_b32_e32 v6, 3, v12
	v_lshrrev_b32_e32 v7, 3, v13
	v_and_b32_e32 v8, 28, v16
	s_clause 0x3
	flat_load_b32 v3, v[1:2]
	flat_load_b32 v4, v[1:2] offset:1024
	flat_load_b32 v5, v[1:2] offset:2048
	;; [unrolled: 1-line block ×3, first 2 shown]
	v_lshrrev_b32_e32 v2, 3, v14
	v_and_b32_e32 v6, 0x5c, v6
	v_and_b32_e32 v7, 0x7c, v7
	v_add_nc_u32_e32 v8, v8, v15
	s_mov_b32 s25, 0
	v_and_b32_e32 v2, 60, v2
	v_add_nc_u32_e32 v6, v6, v15
	v_add_nc_u32_e32 v7, v7, v15
	s_delay_alu instid0(VALU_DEP_3)
	v_add_nc_u32_e32 v2, v2, v15
	s_waitcnt vmcnt(3) lgkmcnt(3)
	ds_store_b32 v8, v3
	s_waitcnt vmcnt(2) lgkmcnt(3)
	ds_store_b32 v2, v4 offset:1024
	s_waitcnt vmcnt(1) lgkmcnt(3)
	ds_store_b32 v6, v5 offset:2048
	;; [unrolled: 2-line block ×3, first 2 shown]
	s_waitcnt lgkmcnt(0)
	s_barrier
.LBB75_6:
	v_cmp_gt_u32_e64 s1, s22, v0
	s_and_not1_b32 vcc_lo, exec_lo, s25
	s_cbranch_vccnz .LBB75_13
; %bb.7:
	v_dual_mov_b32 v1, s18 :: v_dual_mov_b32 v2, s19
	flat_load_b32 v1, v[1:2]
	s_waitcnt vmcnt(0) lgkmcnt(0)
	v_mov_b32_e32 v3, v1
	v_mov_b32_e32 v2, v1
	;; [unrolled: 1-line block ×3, first 2 shown]
	s_and_saveexec_b32 s25, s1
	s_cbranch_execnz .LBB75_59
; %bb.8:
	s_or_b32 exec_lo, exec_lo, s25
	s_delay_alu instid0(SALU_CYCLE_1)
	s_mov_b32 s1, exec_lo
	v_cmpx_gt_u32_e64 s22, v14
	s_cbranch_execnz .LBB75_60
.LBB75_9:
	s_or_b32 exec_lo, exec_lo, s1
	s_delay_alu instid0(SALU_CYCLE_1)
	s_mov_b32 s1, exec_lo
	v_cmpx_gt_u32_e64 s22, v12
	s_cbranch_execnz .LBB75_61
.LBB75_10:
	s_or_b32 exec_lo, exec_lo, s1
	s_delay_alu instid0(SALU_CYCLE_1)
	s_mov_b32 s1, exec_lo
	v_cmpx_gt_u32_e64 s22, v13
	s_cbranch_execz .LBB75_12
.LBB75_11:
	v_add_co_u32 v5, s18, s18, v15
	s_delay_alu instid0(VALU_DEP_1)
	v_add_co_ci_u32_e64 v6, null, s19, 0, s18
	flat_load_b32 v2, v[5:6] offset:3072
.LBB75_12:
	s_or_b32 exec_lo, exec_lo, s1
	v_lshrrev_b32_e32 v5, 3, v14
	v_lshrrev_b32_e32 v6, 3, v12
	;; [unrolled: 1-line block ×3, first 2 shown]
	v_and_b32_e32 v8, 28, v16
	s_delay_alu instid0(VALU_DEP_4) | instskip(NEXT) | instid1(VALU_DEP_4)
	v_and_b32_e32 v5, 60, v5
	v_and_b32_e32 v6, 0x7c, v6
	s_delay_alu instid0(VALU_DEP_4) | instskip(NEXT) | instid1(VALU_DEP_4)
	v_and_b32_e32 v7, 0x7c, v7
	v_add_nc_u32_e32 v8, v8, v15
	s_delay_alu instid0(VALU_DEP_4) | instskip(NEXT) | instid1(VALU_DEP_4)
	v_add_nc_u32_e32 v5, v5, v15
	v_add_nc_u32_e32 v6, v6, v15
	s_delay_alu instid0(VALU_DEP_4)
	v_add_nc_u32_e32 v7, v7, v15
	s_waitcnt vmcnt(0) lgkmcnt(0)
	ds_store_b32 v8, v4
	ds_store_b32 v5, v1 offset:1024
	ds_store_b32 v6, v3 offset:2048
	;; [unrolled: 1-line block ×3, first 2 shown]
	s_waitcnt lgkmcnt(0)
	s_barrier
.LBB75_13:
	v_add_lshl_u32 v3, v16, v15, 2
	buffer_gl0_inv
	v_lshrrev_b32_e32 v17, 5, v0
	v_cmp_gt_u32_e32 vcc_lo, 32, v0
	s_cmp_lg_u32 s24, 0
	ds_load_2addr_b32 v[1:2], v3 offset1:1
	ds_load_2addr_b32 v[3:4], v3 offset0:2 offset1:3
	s_waitcnt lgkmcnt(0)
	s_barrier
	buffer_gl0_inv
	s_cbranch_scc0 .LBB75_38
; %bb.14:
	v_add_nc_u32_e32 v5, v2, v1
	v_add_lshl_u32 v6, v17, v0, 2
	s_delay_alu instid0(VALU_DEP_2)
	v_add3_u32 v5, v5, v3, v4
	ds_store_b32 v6, v5
	s_waitcnt lgkmcnt(0)
	s_barrier
	buffer_gl0_inv
	s_and_saveexec_b32 s18, vcc_lo
	s_cbranch_execz .LBB75_16
; %bb.15:
	v_and_b32_e32 v6, 0xfc, v0
	s_delay_alu instid0(VALU_DEP_1)
	v_lshl_or_b32 v20, v0, 5, v6
	ds_load_2addr_b32 v[6:7], v20 offset1:1
	ds_load_2addr_b32 v[8:9], v20 offset0:2 offset1:3
	ds_load_2addr_b32 v[10:11], v20 offset0:4 offset1:5
	;; [unrolled: 1-line block ×3, first 2 shown]
	; wave barrier
	s_waitcnt lgkmcnt(3)
	v_add_nc_u32_e32 v7, v7, v6
	s_waitcnt lgkmcnt(2)
	s_delay_alu instid0(VALU_DEP_1) | instskip(SKIP_2) | instid1(VALU_DEP_2)
	v_add3_u32 v7, v7, v8, v9
	v_mbcnt_lo_u32_b32 v8, -1, 0
	s_waitcnt lgkmcnt(1)
	v_add3_u32 v7, v7, v10, v11
	s_delay_alu instid0(VALU_DEP_2) | instskip(SKIP_2) | instid1(VALU_DEP_3)
	v_and_b32_e32 v9, 15, v8
	v_bfe_i32 v11, v8, 4, 1
	s_waitcnt lgkmcnt(0)
	v_add3_u32 v7, v7, v18, v19
	s_delay_alu instid0(VALU_DEP_3) | instskip(NEXT) | instid1(VALU_DEP_2)
	v_cmp_ne_u32_e64 s1, 0, v9
	v_mov_b32_dpp v10, v7 row_shr:1 row_mask:0xf bank_mask:0xf
	s_delay_alu instid0(VALU_DEP_1) | instskip(SKIP_1) | instid1(VALU_DEP_2)
	v_cndmask_b32_e64 v10, 0, v10, s1
	v_cmp_lt_u32_e64 s1, 1, v9
	v_add_nc_u32_e32 v7, v10, v7
	s_delay_alu instid0(VALU_DEP_1) | instskip(NEXT) | instid1(VALU_DEP_1)
	v_mov_b32_dpp v10, v7 row_shr:2 row_mask:0xf bank_mask:0xf
	v_cndmask_b32_e64 v10, 0, v10, s1
	v_cmp_lt_u32_e64 s1, 3, v9
	s_delay_alu instid0(VALU_DEP_2) | instskip(NEXT) | instid1(VALU_DEP_1)
	v_add_nc_u32_e32 v7, v7, v10
	v_mov_b32_dpp v10, v7 row_shr:4 row_mask:0xf bank_mask:0xf
	s_delay_alu instid0(VALU_DEP_1) | instskip(SKIP_1) | instid1(VALU_DEP_2)
	v_cndmask_b32_e64 v10, 0, v10, s1
	v_cmp_lt_u32_e64 s1, 7, v9
	v_add_nc_u32_e32 v7, v7, v10
	s_delay_alu instid0(VALU_DEP_1) | instskip(NEXT) | instid1(VALU_DEP_1)
	v_mov_b32_dpp v10, v7 row_shr:8 row_mask:0xf bank_mask:0xf
	v_cndmask_b32_e64 v9, 0, v10, s1
	v_add_nc_u32_e32 v10, -1, v8
	s_delay_alu instid0(VALU_DEP_2) | instskip(NEXT) | instid1(VALU_DEP_2)
	v_add_nc_u32_e32 v7, v7, v9
	v_cmp_gt_i32_e64 s1, 0, v10
	ds_swizzle_b32 v9, v7 offset:swizzle(BROADCAST,32,15)
	v_cndmask_b32_e64 v8, v10, v8, s1
	s_delay_alu instid0(VALU_DEP_1) | instskip(SKIP_2) | instid1(VALU_DEP_1)
	v_lshlrev_b32_e32 v8, 2, v8
	s_waitcnt lgkmcnt(0)
	v_and_b32_e32 v9, v11, v9
	v_add_nc_u32_e32 v7, v7, v9
	ds_bpermute_b32 v7, v8, v7
	s_waitcnt lgkmcnt(0)
	v_add_nc_u32_e32 v6, v7, v6
	s_delay_alu instid0(VALU_DEP_1)
	v_cndmask_b32_e64 v11, v6, v5, s3
	ds_store_b32 v20, v11
	; wave barrier
	ds_load_2addr_b32 v[5:6], v20 offset0:1 offset1:2
	ds_load_2addr_b32 v[7:8], v20 offset0:3 offset1:4
	;; [unrolled: 1-line block ×3, first 2 shown]
	ds_load_b32 v18, v20 offset:28
	s_waitcnt lgkmcnt(3)
	v_add_nc_u32_e32 v5, v5, v11
	s_delay_alu instid0(VALU_DEP_1) | instskip(SKIP_1) | instid1(VALU_DEP_1)
	v_add_nc_u32_e32 v6, v6, v5
	s_waitcnt lgkmcnt(2)
	v_add_nc_u32_e32 v7, v7, v6
	s_delay_alu instid0(VALU_DEP_1) | instskip(SKIP_1) | instid1(VALU_DEP_1)
	v_add_nc_u32_e32 v8, v8, v7
	;; [unrolled: 4-line block ×3, first 2 shown]
	s_waitcnt lgkmcnt(0)
	v_add_nc_u32_e32 v11, v18, v10
	ds_store_2addr_b32 v20, v5, v6 offset0:1 offset1:2
	ds_store_2addr_b32 v20, v7, v8 offset0:3 offset1:4
	;; [unrolled: 1-line block ×3, first 2 shown]
	ds_store_b32 v20, v11 offset:28
.LBB75_16:
	s_or_b32 exec_lo, exec_lo, s18
	v_mov_b32_e32 v18, 0
	s_waitcnt lgkmcnt(0)
	s_barrier
	buffer_gl0_inv
	s_and_saveexec_b32 s1, s2
	s_cbranch_execz .LBB75_18
; %bb.17:
	v_add_nc_u32_e32 v5, -1, v0
	s_delay_alu instid0(VALU_DEP_1) | instskip(NEXT) | instid1(VALU_DEP_1)
	v_lshrrev_b32_e32 v6, 5, v5
	v_add_lshl_u32 v5, v6, v5, 2
	ds_load_b32 v18, v5
.LBB75_18:
	s_or_b32 exec_lo, exec_lo, s1
	s_and_saveexec_b32 s25, vcc_lo
	s_cbranch_execz .LBB75_37
; %bb.19:
	v_mov_b32_e32 v8, 0
	v_mbcnt_lo_u32_b32 v19, -1, 0
	s_mov_b32 s19, 0
	ds_load_b32 v5, v8 offset:1048
	v_cmp_eq_u32_e64 s1, 0, v19
	s_delay_alu instid0(VALU_DEP_1)
	s_and_saveexec_b32 s26, s1
	s_cbranch_execz .LBB75_21
; %bb.20:
	s_add_i32 s18, s24, 32
	v_mov_b32_e32 v6, 1
	s_lshl_b64 s[18:19], s[18:19], 3
	s_delay_alu instid0(SALU_CYCLE_1)
	s_add_u32 s18, s20, s18
	s_addc_u32 s19, s21, s19
	s_waitcnt lgkmcnt(0)
	global_store_b64 v8, v[5:6], s[18:19]
.LBB75_21:
	s_or_b32 exec_lo, exec_lo, s26
	v_xad_u32 v6, v19, -1, s24
	s_mov_b32 s18, exec_lo
	s_delay_alu instid0(VALU_DEP_1) | instskip(NEXT) | instid1(VALU_DEP_1)
	v_add_nc_u32_e32 v7, 32, v6
	v_lshlrev_b64 v[7:8], 3, v[7:8]
	s_delay_alu instid0(VALU_DEP_1) | instskip(NEXT) | instid1(VALU_DEP_2)
	v_add_co_u32 v10, vcc_lo, s20, v7
	v_add_co_ci_u32_e32 v11, vcc_lo, s21, v8, vcc_lo
	global_load_b64 v[8:9], v[10:11], off glc
	s_waitcnt vmcnt(0)
	v_and_b32_e32 v7, 0xff, v9
	s_delay_alu instid0(VALU_DEP_1)
	v_cmpx_eq_u16_e32 0, v7
	s_cbranch_execz .LBB75_25
; %bb.22:
	s_mov_b32 s19, 0
.LBB75_23:                              ; =>This Inner Loop Header: Depth=1
	global_load_b64 v[8:9], v[10:11], off glc
	s_waitcnt vmcnt(0)
	v_and_b32_e32 v7, 0xff, v9
	s_delay_alu instid0(VALU_DEP_1) | instskip(SKIP_1) | instid1(SALU_CYCLE_1)
	v_cmp_ne_u16_e32 vcc_lo, 0, v7
	s_or_b32 s19, vcc_lo, s19
	s_and_not1_b32 exec_lo, exec_lo, s19
	s_cbranch_execnz .LBB75_23
; %bb.24:
	s_or_b32 exec_lo, exec_lo, s19
.LBB75_25:
	s_delay_alu instid0(SALU_CYCLE_1)
	s_or_b32 exec_lo, exec_lo, s18
	v_cmp_ne_u32_e32 vcc_lo, 31, v19
	v_lshlrev_b32_e64 v21, v19, -1
	v_add_nc_u32_e32 v23, 2, v19
	v_add_nc_u32_e32 v25, 4, v19
	;; [unrolled: 1-line block ×3, first 2 shown]
	v_add_co_ci_u32_e32 v7, vcc_lo, 0, v19, vcc_lo
	v_add_nc_u32_e32 v30, 16, v19
	s_delay_alu instid0(VALU_DEP_2) | instskip(SKIP_2) | instid1(VALU_DEP_1)
	v_lshlrev_b32_e32 v20, 2, v7
	ds_bpermute_b32 v10, v20, v8
	v_and_b32_e32 v7, 0xff, v9
	v_cmp_eq_u16_e32 vcc_lo, 2, v7
	v_and_or_b32 v7, vcc_lo, v21, 0x80000000
	v_cmp_gt_u32_e32 vcc_lo, 30, v19
	s_delay_alu instid0(VALU_DEP_2) | instskip(SKIP_1) | instid1(VALU_DEP_2)
	v_ctz_i32_b32_e32 v7, v7
	v_cndmask_b32_e64 v11, 0, 1, vcc_lo
	v_cmp_lt_u32_e32 vcc_lo, v19, v7
	s_waitcnt lgkmcnt(0)
	s_delay_alu instid0(VALU_DEP_2) | instskip(NEXT) | instid1(VALU_DEP_1)
	v_dual_cndmask_b32 v10, 0, v10 :: v_dual_lshlrev_b32 v11, 1, v11
	v_add_lshl_u32 v22, v11, v19, 2
	v_cmp_gt_u32_e32 vcc_lo, 28, v19
	s_delay_alu instid0(VALU_DEP_3) | instskip(SKIP_4) | instid1(VALU_DEP_1)
	v_add_nc_u32_e32 v8, v10, v8
	v_cndmask_b32_e64 v11, 0, 1, vcc_lo
	v_cmp_le_u32_e32 vcc_lo, v23, v7
	ds_bpermute_b32 v10, v22, v8
	v_lshlrev_b32_e32 v11, 2, v11
	v_add_lshl_u32 v24, v11, v19, 2
	s_waitcnt lgkmcnt(0)
	v_cndmask_b32_e32 v10, 0, v10, vcc_lo
	v_cmp_gt_u32_e32 vcc_lo, 24, v19
	s_delay_alu instid0(VALU_DEP_2) | instskip(SKIP_4) | instid1(VALU_DEP_1)
	v_add_nc_u32_e32 v8, v8, v10
	v_cndmask_b32_e64 v11, 0, 1, vcc_lo
	v_cmp_le_u32_e32 vcc_lo, v25, v7
	ds_bpermute_b32 v10, v24, v8
	v_lshlrev_b32_e32 v11, 3, v11
	v_add_lshl_u32 v27, v11, v19, 2
	s_waitcnt lgkmcnt(0)
	v_cndmask_b32_e32 v10, 0, v10, vcc_lo
	v_cmp_gt_u32_e32 vcc_lo, 16, v19
	s_delay_alu instid0(VALU_DEP_2) | instskip(SKIP_4) | instid1(VALU_DEP_1)
	v_add_nc_u32_e32 v8, v8, v10
	v_cndmask_b32_e64 v11, 0, 1, vcc_lo
	v_cmp_le_u32_e32 vcc_lo, v28, v7
	ds_bpermute_b32 v10, v27, v8
	v_lshlrev_b32_e32 v11, 4, v11
	v_add_lshl_u32 v29, v11, v19, 2
	s_waitcnt lgkmcnt(0)
	v_cndmask_b32_e32 v10, 0, v10, vcc_lo
	v_cmp_le_u32_e32 vcc_lo, v30, v7
	s_delay_alu instid0(VALU_DEP_2) | instskip(SKIP_3) | instid1(VALU_DEP_1)
	v_add_nc_u32_e32 v8, v8, v10
	ds_bpermute_b32 v10, v29, v8
	s_waitcnt lgkmcnt(0)
	v_cndmask_b32_e32 v7, 0, v10, vcc_lo
	v_dual_mov_b32 v7, 0 :: v_dual_add_nc_u32 v8, v8, v7
	s_branch .LBB75_27
.LBB75_26:                              ;   in Loop: Header=BB75_27 Depth=1
	s_or_b32 exec_lo, exec_lo, s18
	ds_bpermute_b32 v11, v20, v8
	v_and_b32_e32 v10, 0xff, v9
	v_subrev_nc_u32_e32 v6, 32, v6
	s_delay_alu instid0(VALU_DEP_2) | instskip(SKIP_1) | instid1(VALU_DEP_1)
	v_cmp_eq_u16_e32 vcc_lo, 2, v10
	v_and_or_b32 v10, vcc_lo, v21, 0x80000000
	v_ctz_i32_b32_e32 v10, v10
	s_delay_alu instid0(VALU_DEP_1) | instskip(SKIP_3) | instid1(VALU_DEP_2)
	v_cmp_lt_u32_e32 vcc_lo, v19, v10
	s_waitcnt lgkmcnt(0)
	v_cndmask_b32_e32 v11, 0, v11, vcc_lo
	v_cmp_le_u32_e32 vcc_lo, v23, v10
	v_add_nc_u32_e32 v8, v11, v8
	ds_bpermute_b32 v11, v22, v8
	s_waitcnt lgkmcnt(0)
	v_cndmask_b32_e32 v11, 0, v11, vcc_lo
	v_cmp_le_u32_e32 vcc_lo, v25, v10
	s_delay_alu instid0(VALU_DEP_2) | instskip(SKIP_4) | instid1(VALU_DEP_2)
	v_add_nc_u32_e32 v8, v8, v11
	ds_bpermute_b32 v11, v24, v8
	s_waitcnt lgkmcnt(0)
	v_cndmask_b32_e32 v11, 0, v11, vcc_lo
	v_cmp_le_u32_e32 vcc_lo, v28, v10
	v_add_nc_u32_e32 v8, v8, v11
	ds_bpermute_b32 v11, v27, v8
	s_waitcnt lgkmcnt(0)
	v_cndmask_b32_e32 v11, 0, v11, vcc_lo
	v_cmp_le_u32_e32 vcc_lo, v30, v10
	s_delay_alu instid0(VALU_DEP_2) | instskip(SKIP_3) | instid1(VALU_DEP_1)
	v_add_nc_u32_e32 v8, v8, v11
	ds_bpermute_b32 v11, v29, v8
	s_waitcnt lgkmcnt(0)
	v_cndmask_b32_e32 v10, 0, v11, vcc_lo
	v_add3_u32 v8, v10, v26, v8
.LBB75_27:                              ; =>This Loop Header: Depth=1
                                        ;     Child Loop BB75_30 Depth 2
	s_delay_alu instid0(VALU_DEP_1) | instskip(NEXT) | instid1(VALU_DEP_1)
	v_dual_mov_b32 v26, v8 :: v_dual_and_b32 v9, 0xff, v9
	v_cmp_ne_u16_e32 vcc_lo, 2, v9
	v_cndmask_b32_e64 v9, 0, 1, vcc_lo
	;;#ASMSTART
	;;#ASMEND
	s_delay_alu instid0(VALU_DEP_1)
	v_cmp_ne_u32_e32 vcc_lo, 0, v9
	s_cmp_lg_u32 vcc_lo, exec_lo
	s_cbranch_scc1 .LBB75_32
; %bb.28:                               ;   in Loop: Header=BB75_27 Depth=1
	v_lshlrev_b64 v[8:9], 3, v[6:7]
	s_mov_b32 s18, exec_lo
	s_delay_alu instid0(VALU_DEP_1) | instskip(NEXT) | instid1(VALU_DEP_2)
	v_add_co_u32 v10, vcc_lo, s20, v8
	v_add_co_ci_u32_e32 v11, vcc_lo, s21, v9, vcc_lo
	global_load_b64 v[8:9], v[10:11], off glc
	s_waitcnt vmcnt(0)
	v_and_b32_e32 v31, 0xff, v9
	s_delay_alu instid0(VALU_DEP_1)
	v_cmpx_eq_u16_e32 0, v31
	s_cbranch_execz .LBB75_26
; %bb.29:                               ;   in Loop: Header=BB75_27 Depth=1
	s_mov_b32 s19, 0
.LBB75_30:                              ;   Parent Loop BB75_27 Depth=1
                                        ; =>  This Inner Loop Header: Depth=2
	global_load_b64 v[8:9], v[10:11], off glc
	s_waitcnt vmcnt(0)
	v_and_b32_e32 v31, 0xff, v9
	s_delay_alu instid0(VALU_DEP_1) | instskip(SKIP_1) | instid1(SALU_CYCLE_1)
	v_cmp_ne_u16_e32 vcc_lo, 0, v31
	s_or_b32 s19, vcc_lo, s19
	s_and_not1_b32 exec_lo, exec_lo, s19
	s_cbranch_execnz .LBB75_30
; %bb.31:                               ;   in Loop: Header=BB75_27 Depth=1
	s_or_b32 exec_lo, exec_lo, s19
	s_branch .LBB75_26
.LBB75_32:                              ;   in Loop: Header=BB75_27 Depth=1
                                        ; implicit-def: $vgpr8
                                        ; implicit-def: $vgpr9
	s_cbranch_execz .LBB75_27
; %bb.33:
	s_and_saveexec_b32 s18, s1
	s_cbranch_execz .LBB75_35
; %bb.34:
	s_add_i32 s26, s24, 32
	s_mov_b32 s27, 0
	v_dual_mov_b32 v6, 2 :: v_dual_add_nc_u32 v5, v26, v5
	s_lshl_b64 s[26:27], s[26:27], 3
	v_mov_b32_e32 v7, 0
	s_add_u32 s26, s20, s26
	s_addc_u32 s27, s21, s27
	global_store_b64 v7, v[5:6], s[26:27]
.LBB75_35:
	s_or_b32 exec_lo, exec_lo, s18
	s_delay_alu instid0(SALU_CYCLE_1)
	s_and_b32 exec_lo, exec_lo, s3
	s_cbranch_execz .LBB75_37
; %bb.36:
	v_mov_b32_e32 v5, 0
	ds_store_b32 v5, v26
.LBB75_37:
	s_or_b32 exec_lo, exec_lo, s25
	v_mov_b32_e32 v5, 0
	s_waitcnt lgkmcnt(0)
	s_waitcnt_vscnt null, 0x0
	s_barrier
	buffer_gl0_inv
	ds_load_b32 v5, v5
	s_waitcnt lgkmcnt(0)
	v_add3_u32 v6, v18, v1, v5
	s_delay_alu instid0(VALU_DEP_1) | instskip(NEXT) | instid1(VALU_DEP_1)
	v_add_nc_u32_e32 v7, v6, v2
	v_add_nc_u32_e32 v8, v7, v3
	s_delay_alu instid0(VALU_DEP_1)
	v_add_nc_u32_e32 v5, v8, v4
	s_branch .LBB75_50
.LBB75_38:
                                        ; implicit-def: $vgpr5
                                        ; implicit-def: $vgpr8
                                        ; implicit-def: $vgpr7
                                        ; implicit-def: $vgpr6
	s_cbranch_execz .LBB75_50
; %bb.39:
	s_cmp_lg_u64 s[8:9], 0
	s_cselect_b32 s1, -1, 0
	s_delay_alu instid0(SALU_CYCLE_1) | instskip(NEXT) | instid1(SALU_CYCLE_1)
	s_and_b32 s8, s3, s1
	s_and_saveexec_b32 s1, s8
	s_cbranch_execz .LBB75_41
; %bb.40:
	v_mov_b32_e32 v5, 0
	global_load_b32 v5, v5, s[4:5]
	s_waitcnt vmcnt(0)
	v_add_nc_u32_e32 v1, v5, v1
.LBB75_41:
	s_or_b32 exec_lo, exec_lo, s1
	s_delay_alu instid0(VALU_DEP_1) | instskip(SKIP_2) | instid1(VALU_DEP_2)
	v_add_nc_u32_e32 v7, v2, v1
	v_add_lshl_u32 v6, v17, v0, 2
	s_mov_b32 s1, exec_lo
	v_add_nc_u32_e32 v8, v7, v3
	s_delay_alu instid0(VALU_DEP_1)
	v_add_nc_u32_e32 v5, v8, v4
	ds_store_b32 v6, v5
	s_waitcnt lgkmcnt(0)
	s_barrier
	buffer_gl0_inv
	v_cmpx_gt_u32_e32 32, v0
	s_cbranch_execz .LBB75_43
; %bb.42:
	v_and_b32_e32 v6, 0xfc, v0
	v_mbcnt_lo_u32_b32 v11, -1, 0
	s_delay_alu instid0(VALU_DEP_2)
	v_lshl_or_b32 v6, v0, 5, v6
	ds_load_2addr_b32 v[9:10], v6 offset1:1
	ds_load_2addr_b32 v[18:19], v6 offset0:2 offset1:3
	ds_load_2addr_b32 v[20:21], v6 offset0:4 offset1:5
	;; [unrolled: 1-line block ×3, first 2 shown]
	; wave barrier
	s_waitcnt lgkmcnt(3)
	v_add_nc_u32_e32 v10, v10, v9
	s_waitcnt lgkmcnt(2)
	s_delay_alu instid0(VALU_DEP_1) | instskip(SKIP_2) | instid1(VALU_DEP_2)
	v_add3_u32 v10, v10, v18, v19
	v_and_b32_e32 v18, 15, v11
	s_waitcnt lgkmcnt(1)
	v_add3_u32 v10, v10, v20, v21
	s_delay_alu instid0(VALU_DEP_2) | instskip(SKIP_2) | instid1(VALU_DEP_3)
	v_cmp_ne_u32_e32 vcc_lo, 0, v18
	v_bfe_i32 v20, v11, 4, 1
	s_waitcnt lgkmcnt(0)
	v_add3_u32 v10, v10, v22, v23
	s_delay_alu instid0(VALU_DEP_1) | instskip(NEXT) | instid1(VALU_DEP_1)
	v_mov_b32_dpp v19, v10 row_shr:1 row_mask:0xf bank_mask:0xf
	v_cndmask_b32_e32 v19, 0, v19, vcc_lo
	v_cmp_lt_u32_e32 vcc_lo, 1, v18
	s_delay_alu instid0(VALU_DEP_2) | instskip(NEXT) | instid1(VALU_DEP_1)
	v_add_nc_u32_e32 v10, v19, v10
	v_mov_b32_dpp v19, v10 row_shr:2 row_mask:0xf bank_mask:0xf
	s_delay_alu instid0(VALU_DEP_1) | instskip(SKIP_1) | instid1(VALU_DEP_2)
	v_cndmask_b32_e32 v19, 0, v19, vcc_lo
	v_cmp_lt_u32_e32 vcc_lo, 3, v18
	v_add_nc_u32_e32 v10, v10, v19
	s_delay_alu instid0(VALU_DEP_1) | instskip(NEXT) | instid1(VALU_DEP_1)
	v_mov_b32_dpp v19, v10 row_shr:4 row_mask:0xf bank_mask:0xf
	v_cndmask_b32_e32 v19, 0, v19, vcc_lo
	v_cmp_lt_u32_e32 vcc_lo, 7, v18
	s_delay_alu instid0(VALU_DEP_2) | instskip(NEXT) | instid1(VALU_DEP_1)
	v_add_nc_u32_e32 v10, v10, v19
	v_mov_b32_dpp v19, v10 row_shr:8 row_mask:0xf bank_mask:0xf
	s_delay_alu instid0(VALU_DEP_1) | instskip(SKIP_1) | instid1(VALU_DEP_1)
	v_cndmask_b32_e32 v18, 0, v19, vcc_lo
	v_add_nc_u32_e32 v19, -1, v11
	v_cmp_gt_i32_e32 vcc_lo, 0, v19
	s_delay_alu instid0(VALU_DEP_3) | instskip(SKIP_4) | instid1(VALU_DEP_1)
	v_dual_cndmask_b32 v11, v19, v11 :: v_dual_add_nc_u32 v10, v10, v18
	ds_swizzle_b32 v18, v10 offset:swizzle(BROADCAST,32,15)
	v_lshlrev_b32_e32 v11, 2, v11
	s_waitcnt lgkmcnt(0)
	v_and_b32_e32 v18, v20, v18
	v_add_nc_u32_e32 v10, v10, v18
	ds_bpermute_b32 v10, v11, v10
	s_waitcnt lgkmcnt(0)
	v_add_nc_u32_e32 v9, v10, v9
	s_delay_alu instid0(VALU_DEP_1)
	v_cndmask_b32_e64 v11, v9, v5, s3
	ds_store_b32 v6, v11
	; wave barrier
	ds_load_2addr_b32 v[9:10], v6 offset0:1 offset1:2
	ds_load_2addr_b32 v[18:19], v6 offset0:3 offset1:4
	ds_load_2addr_b32 v[20:21], v6 offset0:5 offset1:6
	ds_load_b32 v22, v6 offset:28
	s_waitcnt lgkmcnt(3)
	v_add_nc_u32_e32 v9, v9, v11
	s_delay_alu instid0(VALU_DEP_1) | instskip(SKIP_1) | instid1(VALU_DEP_1)
	v_add_nc_u32_e32 v10, v10, v9
	s_waitcnt lgkmcnt(2)
	v_add_nc_u32_e32 v11, v18, v10
	s_delay_alu instid0(VALU_DEP_1) | instskip(SKIP_1) | instid1(VALU_DEP_1)
	v_add_nc_u32_e32 v18, v19, v11
	;; [unrolled: 4-line block ×3, first 2 shown]
	s_waitcnt lgkmcnt(0)
	v_add_nc_u32_e32 v21, v22, v20
	ds_store_2addr_b32 v6, v9, v10 offset0:1 offset1:2
	ds_store_2addr_b32 v6, v11, v18 offset0:3 offset1:4
	;; [unrolled: 1-line block ×3, first 2 shown]
	ds_store_b32 v6, v21 offset:28
.LBB75_43:
	s_or_b32 exec_lo, exec_lo, s1
	v_mov_b32_e32 v6, v5
	s_waitcnt lgkmcnt(0)
	s_barrier
	buffer_gl0_inv
	s_and_saveexec_b32 s1, s2
	s_cbranch_execz .LBB75_45
; %bb.44:
	v_add_nc_u32_e32 v6, -1, v0
	s_delay_alu instid0(VALU_DEP_1) | instskip(NEXT) | instid1(VALU_DEP_1)
	v_lshrrev_b32_e32 v9, 5, v6
	v_add_lshl_u32 v6, v9, v6, 2
	ds_load_b32 v6, v6
.LBB75_45:
	s_or_b32 exec_lo, exec_lo, s1
	s_and_saveexec_b32 s1, s2
	s_cbranch_execz .LBB75_47
; %bb.46:
	s_waitcnt lgkmcnt(0)
	v_add_nc_u32_e32 v1, v6, v1
	;;#ASMSTART
	;;#ASMEND
	s_delay_alu instid0(VALU_DEP_1) | instskip(NEXT) | instid1(VALU_DEP_1)
	v_add_nc_u32_e32 v7, v1, v2
	v_add_nc_u32_e32 v8, v7, v3
	s_delay_alu instid0(VALU_DEP_1)
	v_add_nc_u32_e32 v5, v8, v4
.LBB75_47:
	s_or_b32 exec_lo, exec_lo, s1
	s_delay_alu instid0(SALU_CYCLE_1)
	s_mov_b32 s1, exec_lo
	v_cmpx_eq_u32_e32 0xff, v0
	s_cbranch_execz .LBB75_49
; %bb.48:
	v_mov_b32_e32 v2, 0
	s_waitcnt lgkmcnt(0)
	v_mov_b32_e32 v6, 2
	global_store_b64 v2, v[5:6], s[20:21] offset:256
.LBB75_49:
	s_or_b32 exec_lo, exec_lo, s1
	s_waitcnt lgkmcnt(0)
	v_mov_b32_e32 v6, v1
.LBB75_50:
	s_add_u32 s1, s16, s14
	v_lshlrev_b32_e32 v1, 4, v0
	s_addc_u32 s2, s17, s15
	s_add_u32 s1, s1, s12
	s_addc_u32 s2, s2, s13
	s_and_b32 vcc_lo, exec_lo, s0
	s_mov_b32 s0, -1
	s_waitcnt_vscnt null, 0x0
	s_barrier
	buffer_gl0_inv
	s_cbranch_vccz .LBB75_52
; %bb.51:
	v_lshl_add_u32 v2, v16, 2, v1
	v_lshrrev_b32_e32 v3, 5, v14
	v_lshrrev_b32_e32 v4, 5, v12
	v_add_lshl_u32 v9, v17, v0, 2
	ds_store_2addr_b32 v2, v6, v7 offset1:1
	ds_store_2addr_b32 v2, v8, v5 offset0:2 offset1:3
	v_lshrrev_b32_e32 v2, 5, v13
	v_add_lshl_u32 v3, v3, v0, 2
	v_add_lshl_u32 v4, v4, v0, 2
	s_waitcnt lgkmcnt(0)
	s_barrier
	v_add_lshl_u32 v2, v2, v0, 2
	buffer_gl0_inv
	ds_load_b32 v9, v9
	ds_load_b32 v10, v3 offset:1024
	ds_load_b32 v4, v4 offset:2048
	;; [unrolled: 1-line block ×3, first 2 shown]
	v_add_co_u32 v2, s0, s1, v15
	s_delay_alu instid0(VALU_DEP_1)
	v_add_co_ci_u32_e64 v3, null, s2, 0, s0
	s_mov_b32 s0, 0
	s_waitcnt lgkmcnt(3)
	flat_store_b32 v[2:3], v9
	s_waitcnt lgkmcnt(3)
	flat_store_b32 v[2:3], v10 offset:1024
	s_waitcnt lgkmcnt(3)
	flat_store_b32 v[2:3], v4 offset:2048
	;; [unrolled: 2-line block ×3, first 2 shown]
.LBB75_52:
	s_and_not1_b32 vcc_lo, exec_lo, s0
	s_cbranch_vccnz .LBB75_58
; %bb.53:
	v_lshl_add_u32 v1, v16, 2, v1
	v_lshrrev_b32_e32 v2, 5, v14
	v_lshrrev_b32_e32 v3, 5, v12
	v_add_lshl_u32 v4, v17, v0, 2
	ds_store_2addr_b32 v1, v6, v7 offset1:1
	ds_store_2addr_b32 v1, v8, v5 offset0:2 offset1:3
	v_lshrrev_b32_e32 v1, 5, v13
	v_add_lshl_u32 v2, v2, v0, 2
	v_add_lshl_u32 v3, v3, v0, 2
	s_waitcnt lgkmcnt(0)
	s_waitcnt_vscnt null, 0x0
	s_barrier
	v_add_lshl_u32 v1, v1, v0, 2
	buffer_gl0_inv
	ds_load_b32 v5, v4
	ds_load_b32 v4, v2 offset:1024
	ds_load_b32 v6, v3 offset:2048
	;; [unrolled: 1-line block ×3, first 2 shown]
	v_add_co_u32 v2, s0, s1, v15
	v_mov_b32_e32 v1, 0
	v_add_co_ci_u32_e64 v3, null, s2, 0, s0
	s_mov_b32 s0, exec_lo
	v_cmpx_gt_u32_e64 s22, v0
	s_cbranch_execnz .LBB75_62
; %bb.54:
	s_or_b32 exec_lo, exec_lo, s0
	s_delay_alu instid0(SALU_CYCLE_1)
	s_mov_b32 s0, exec_lo
	v_cmpx_gt_u32_e64 s22, v14
	s_cbranch_execnz .LBB75_63
.LBB75_55:
	s_or_b32 exec_lo, exec_lo, s0
	s_delay_alu instid0(SALU_CYCLE_1)
	s_mov_b32 s0, exec_lo
	v_cmpx_gt_u32_e64 s22, v12
	s_cbranch_execnz .LBB75_64
.LBB75_56:
	s_or_b32 exec_lo, exec_lo, s0
	s_delay_alu instid0(SALU_CYCLE_1)
	s_mov_b32 s0, exec_lo
	v_cmpx_gt_u32_e64 s22, v13
	s_cbranch_execnz .LBB75_65
.LBB75_57:
	s_or_b32 exec_lo, exec_lo, s0
	v_cmp_lt_u64_e64 s0, s[10:11], 2
	s_delay_alu instid0(VALU_DEP_1)
	s_and_b32 vcc_lo, exec_lo, s0
	s_cbranch_vccz .LBB75_66
.LBB75_58:
	s_endpgm
.LBB75_59:
	v_add_co_u32 v4, s1, s18, v15
	s_delay_alu instid0(VALU_DEP_1) | instskip(SKIP_2) | instid1(SALU_CYCLE_1)
	v_add_co_ci_u32_e64 v5, null, s19, 0, s1
	flat_load_b32 v4, v[4:5]
	s_or_b32 exec_lo, exec_lo, s25
	s_mov_b32 s1, exec_lo
	v_cmpx_gt_u32_e64 s22, v14
	s_cbranch_execz .LBB75_9
.LBB75_60:
	v_add_co_u32 v5, s25, s18, v15
	s_delay_alu instid0(VALU_DEP_1) | instskip(SKIP_2) | instid1(SALU_CYCLE_1)
	v_add_co_ci_u32_e64 v6, null, s19, 0, s25
	flat_load_b32 v1, v[5:6] offset:1024
	s_or_b32 exec_lo, exec_lo, s1
	s_mov_b32 s1, exec_lo
	v_cmpx_gt_u32_e64 s22, v12
	s_cbranch_execz .LBB75_10
.LBB75_61:
	v_add_co_u32 v5, s25, s18, v15
	s_delay_alu instid0(VALU_DEP_1) | instskip(SKIP_2) | instid1(SALU_CYCLE_1)
	v_add_co_ci_u32_e64 v6, null, s19, 0, s25
	flat_load_b32 v3, v[5:6] offset:2048
	s_or_b32 exec_lo, exec_lo, s1
	s_mov_b32 s1, exec_lo
	v_cmpx_gt_u32_e64 s22, v13
	s_cbranch_execnz .LBB75_11
	s_branch .LBB75_12
.LBB75_62:
	s_waitcnt lgkmcnt(3)
	flat_store_b32 v[2:3], v5
	s_or_b32 exec_lo, exec_lo, s0
	s_delay_alu instid0(SALU_CYCLE_1)
	s_mov_b32 s0, exec_lo
	v_cmpx_gt_u32_e64 s22, v14
	s_cbranch_execz .LBB75_55
.LBB75_63:
	s_waitcnt lgkmcnt(2)
	flat_store_b32 v[2:3], v4 offset:1024
	s_or_b32 exec_lo, exec_lo, s0
	s_delay_alu instid0(SALU_CYCLE_1)
	s_mov_b32 s0, exec_lo
	v_cmpx_gt_u32_e64 s22, v12
	s_cbranch_execz .LBB75_56
.LBB75_64:
	s_waitcnt lgkmcnt(1)
	flat_store_b32 v[2:3], v6 offset:2048
	s_or_b32 exec_lo, exec_lo, s0
	s_delay_alu instid0(SALU_CYCLE_1)
	s_mov_b32 s0, exec_lo
	v_cmpx_gt_u32_e64 s22, v13
	s_cbranch_execz .LBB75_57
.LBB75_65:
	s_waitcnt lgkmcnt(0)
	flat_store_b32 v[2:3], v7 offset:3072
	s_or_b32 exec_lo, exec_lo, s0
	v_cmp_lt_u64_e64 s0, s[10:11], 2
	s_delay_alu instid0(VALU_DEP_1)
	s_and_b32 vcc_lo, exec_lo, s0
	s_cbranch_vccnz .LBB75_58
.LBB75_66:
	s_add_u32 s0, s22, -1
	s_addc_u32 s1, s23, -1
	s_delay_alu instid0(SALU_CYCLE_1)
	s_lshr_b64 s[2:3], s[0:1], 2
	s_mov_b32 s1, exec_lo
	v_cmpx_eq_u64_e64 s[2:3], v[0:1]
	s_cbranch_execz .LBB75_58
; %bb.67:
	s_and_b32 s0, s0, 3
	s_mov_b32 s1, 0
	s_delay_alu instid0(SALU_CYCLE_1) | instskip(NEXT) | instid1(VALU_DEP_1)
	v_cmp_lt_i64_e64 s2, s[0:1], 2
	s_and_b32 vcc_lo, exec_lo, s2
	s_mov_b32 s2, -1
	s_cbranch_vccnz .LBB75_73
; %bb.68:
	v_cmp_gt_i64_e64 s2, s[0:1], 2
	s_delay_alu instid0(VALU_DEP_1)
	s_and_b32 vcc_lo, exec_lo, s2
	s_mov_b32 s2, -1
	s_cbranch_vccz .LBB75_70
; %bb.69:
	v_mov_b32_e32 v0, 0
	s_mov_b32 s2, 0
	s_waitcnt lgkmcnt(0)
	global_store_b32 v0, v7, s[6:7]
.LBB75_70:
	s_and_not1_b32 vcc_lo, exec_lo, s2
	s_cbranch_vccnz .LBB75_72
; %bb.71:
	v_mov_b32_e32 v0, 0
	s_waitcnt lgkmcnt(1)
	global_store_b32 v0, v6, s[6:7]
.LBB75_72:
	s_mov_b32 s2, 0
.LBB75_73:
	s_delay_alu instid0(SALU_CYCLE_1)
	s_and_not1_b32 vcc_lo, exec_lo, s2
	s_cbranch_vccnz .LBB75_58
; %bb.74:
	s_cmp_eq_u64 s[0:1], 1
	s_mov_b32 s0, -1
	s_cbranch_scc1 .LBB75_76
; %bb.75:
	v_mov_b32_e32 v0, 0
	s_mov_b32 s0, 0
	s_waitcnt lgkmcnt(3)
	global_store_b32 v0, v5, s[6:7]
.LBB75_76:
	s_and_not1_b32 vcc_lo, exec_lo, s0
	s_cbranch_vccnz .LBB75_58
; %bb.77:
	v_mov_b32_e32 v0, 0
	s_waitcnt lgkmcnt(2)
	global_store_b32 v0, v4, s[6:7]
	s_endpgm
	.section	.rodata,"a",@progbits
	.p2align	6, 0x0
	.amdhsa_kernel _ZN7rocprim17ROCPRIM_400000_NS6detail17trampoline_kernelINS0_14default_configENS1_20scan_config_selectorIiEEZZNS1_9scan_implILNS1_25lookback_scan_determinismE0ELb0ELb0ES3_N6thrust23THRUST_200600_302600_NS6detail15normal_iteratorINS9_10device_ptrIiEEEESE_iNS9_4plusIvEEiEEDaPvRmT3_T4_T5_mT6_P12ihipStream_tbENKUlT_T0_E_clISt17integral_constantIbLb0EEST_IbLb1EEEEDaSP_SQ_EUlSP_E_NS1_11comp_targetILNS1_3genE9ELNS1_11target_archE1100ELNS1_3gpuE3ELNS1_3repE0EEENS1_30default_config_static_selectorELNS0_4arch9wavefront6targetE0EEEvT1_
		.amdhsa_group_segment_fixed_size 4224
		.amdhsa_private_segment_fixed_size 0
		.amdhsa_kernarg_size 96
		.amdhsa_user_sgpr_count 15
		.amdhsa_user_sgpr_dispatch_ptr 0
		.amdhsa_user_sgpr_queue_ptr 0
		.amdhsa_user_sgpr_kernarg_segment_ptr 1
		.amdhsa_user_sgpr_dispatch_id 0
		.amdhsa_user_sgpr_private_segment_size 0
		.amdhsa_wavefront_size32 1
		.amdhsa_uses_dynamic_stack 0
		.amdhsa_enable_private_segment 0
		.amdhsa_system_sgpr_workgroup_id_x 1
		.amdhsa_system_sgpr_workgroup_id_y 0
		.amdhsa_system_sgpr_workgroup_id_z 0
		.amdhsa_system_sgpr_workgroup_info 0
		.amdhsa_system_vgpr_workitem_id 0
		.amdhsa_next_free_vgpr 32
		.amdhsa_next_free_sgpr 28
		.amdhsa_reserve_vcc 1
		.amdhsa_float_round_mode_32 0
		.amdhsa_float_round_mode_16_64 0
		.amdhsa_float_denorm_mode_32 3
		.amdhsa_float_denorm_mode_16_64 3
		.amdhsa_dx10_clamp 1
		.amdhsa_ieee_mode 1
		.amdhsa_fp16_overflow 0
		.amdhsa_workgroup_processor_mode 1
		.amdhsa_memory_ordered 1
		.amdhsa_forward_progress 0
		.amdhsa_shared_vgpr_count 0
		.amdhsa_exception_fp_ieee_invalid_op 0
		.amdhsa_exception_fp_denorm_src 0
		.amdhsa_exception_fp_ieee_div_zero 0
		.amdhsa_exception_fp_ieee_overflow 0
		.amdhsa_exception_fp_ieee_underflow 0
		.amdhsa_exception_fp_ieee_inexact 0
		.amdhsa_exception_int_div_zero 0
	.end_amdhsa_kernel
	.section	.text._ZN7rocprim17ROCPRIM_400000_NS6detail17trampoline_kernelINS0_14default_configENS1_20scan_config_selectorIiEEZZNS1_9scan_implILNS1_25lookback_scan_determinismE0ELb0ELb0ES3_N6thrust23THRUST_200600_302600_NS6detail15normal_iteratorINS9_10device_ptrIiEEEESE_iNS9_4plusIvEEiEEDaPvRmT3_T4_T5_mT6_P12ihipStream_tbENKUlT_T0_E_clISt17integral_constantIbLb0EEST_IbLb1EEEEDaSP_SQ_EUlSP_E_NS1_11comp_targetILNS1_3genE9ELNS1_11target_archE1100ELNS1_3gpuE3ELNS1_3repE0EEENS1_30default_config_static_selectorELNS0_4arch9wavefront6targetE0EEEvT1_,"axG",@progbits,_ZN7rocprim17ROCPRIM_400000_NS6detail17trampoline_kernelINS0_14default_configENS1_20scan_config_selectorIiEEZZNS1_9scan_implILNS1_25lookback_scan_determinismE0ELb0ELb0ES3_N6thrust23THRUST_200600_302600_NS6detail15normal_iteratorINS9_10device_ptrIiEEEESE_iNS9_4plusIvEEiEEDaPvRmT3_T4_T5_mT6_P12ihipStream_tbENKUlT_T0_E_clISt17integral_constantIbLb0EEST_IbLb1EEEEDaSP_SQ_EUlSP_E_NS1_11comp_targetILNS1_3genE9ELNS1_11target_archE1100ELNS1_3gpuE3ELNS1_3repE0EEENS1_30default_config_static_selectorELNS0_4arch9wavefront6targetE0EEEvT1_,comdat
.Lfunc_end75:
	.size	_ZN7rocprim17ROCPRIM_400000_NS6detail17trampoline_kernelINS0_14default_configENS1_20scan_config_selectorIiEEZZNS1_9scan_implILNS1_25lookback_scan_determinismE0ELb0ELb0ES3_N6thrust23THRUST_200600_302600_NS6detail15normal_iteratorINS9_10device_ptrIiEEEESE_iNS9_4plusIvEEiEEDaPvRmT3_T4_T5_mT6_P12ihipStream_tbENKUlT_T0_E_clISt17integral_constantIbLb0EEST_IbLb1EEEEDaSP_SQ_EUlSP_E_NS1_11comp_targetILNS1_3genE9ELNS1_11target_archE1100ELNS1_3gpuE3ELNS1_3repE0EEENS1_30default_config_static_selectorELNS0_4arch9wavefront6targetE0EEEvT1_, .Lfunc_end75-_ZN7rocprim17ROCPRIM_400000_NS6detail17trampoline_kernelINS0_14default_configENS1_20scan_config_selectorIiEEZZNS1_9scan_implILNS1_25lookback_scan_determinismE0ELb0ELb0ES3_N6thrust23THRUST_200600_302600_NS6detail15normal_iteratorINS9_10device_ptrIiEEEESE_iNS9_4plusIvEEiEEDaPvRmT3_T4_T5_mT6_P12ihipStream_tbENKUlT_T0_E_clISt17integral_constantIbLb0EEST_IbLb1EEEEDaSP_SQ_EUlSP_E_NS1_11comp_targetILNS1_3genE9ELNS1_11target_archE1100ELNS1_3gpuE3ELNS1_3repE0EEENS1_30default_config_static_selectorELNS0_4arch9wavefront6targetE0EEEvT1_
                                        ; -- End function
	.section	.AMDGPU.csdata,"",@progbits
; Kernel info:
; codeLenInByte = 4136
; NumSgprs: 30
; NumVgprs: 32
; ScratchSize: 0
; MemoryBound: 0
; FloatMode: 240
; IeeeMode: 1
; LDSByteSize: 4224 bytes/workgroup (compile time only)
; SGPRBlocks: 3
; VGPRBlocks: 3
; NumSGPRsForWavesPerEU: 30
; NumVGPRsForWavesPerEU: 32
; Occupancy: 16
; WaveLimiterHint : 1
; COMPUTE_PGM_RSRC2:SCRATCH_EN: 0
; COMPUTE_PGM_RSRC2:USER_SGPR: 15
; COMPUTE_PGM_RSRC2:TRAP_HANDLER: 0
; COMPUTE_PGM_RSRC2:TGID_X_EN: 1
; COMPUTE_PGM_RSRC2:TGID_Y_EN: 0
; COMPUTE_PGM_RSRC2:TGID_Z_EN: 0
; COMPUTE_PGM_RSRC2:TIDIG_COMP_CNT: 0
	.section	.text._ZN7rocprim17ROCPRIM_400000_NS6detail17trampoline_kernelINS0_14default_configENS1_20scan_config_selectorIiEEZZNS1_9scan_implILNS1_25lookback_scan_determinismE0ELb0ELb0ES3_N6thrust23THRUST_200600_302600_NS6detail15normal_iteratorINS9_10device_ptrIiEEEESE_iNS9_4plusIvEEiEEDaPvRmT3_T4_T5_mT6_P12ihipStream_tbENKUlT_T0_E_clISt17integral_constantIbLb0EEST_IbLb1EEEEDaSP_SQ_EUlSP_E_NS1_11comp_targetILNS1_3genE8ELNS1_11target_archE1030ELNS1_3gpuE2ELNS1_3repE0EEENS1_30default_config_static_selectorELNS0_4arch9wavefront6targetE0EEEvT1_,"axG",@progbits,_ZN7rocprim17ROCPRIM_400000_NS6detail17trampoline_kernelINS0_14default_configENS1_20scan_config_selectorIiEEZZNS1_9scan_implILNS1_25lookback_scan_determinismE0ELb0ELb0ES3_N6thrust23THRUST_200600_302600_NS6detail15normal_iteratorINS9_10device_ptrIiEEEESE_iNS9_4plusIvEEiEEDaPvRmT3_T4_T5_mT6_P12ihipStream_tbENKUlT_T0_E_clISt17integral_constantIbLb0EEST_IbLb1EEEEDaSP_SQ_EUlSP_E_NS1_11comp_targetILNS1_3genE8ELNS1_11target_archE1030ELNS1_3gpuE2ELNS1_3repE0EEENS1_30default_config_static_selectorELNS0_4arch9wavefront6targetE0EEEvT1_,comdat
	.protected	_ZN7rocprim17ROCPRIM_400000_NS6detail17trampoline_kernelINS0_14default_configENS1_20scan_config_selectorIiEEZZNS1_9scan_implILNS1_25lookback_scan_determinismE0ELb0ELb0ES3_N6thrust23THRUST_200600_302600_NS6detail15normal_iteratorINS9_10device_ptrIiEEEESE_iNS9_4plusIvEEiEEDaPvRmT3_T4_T5_mT6_P12ihipStream_tbENKUlT_T0_E_clISt17integral_constantIbLb0EEST_IbLb1EEEEDaSP_SQ_EUlSP_E_NS1_11comp_targetILNS1_3genE8ELNS1_11target_archE1030ELNS1_3gpuE2ELNS1_3repE0EEENS1_30default_config_static_selectorELNS0_4arch9wavefront6targetE0EEEvT1_ ; -- Begin function _ZN7rocprim17ROCPRIM_400000_NS6detail17trampoline_kernelINS0_14default_configENS1_20scan_config_selectorIiEEZZNS1_9scan_implILNS1_25lookback_scan_determinismE0ELb0ELb0ES3_N6thrust23THRUST_200600_302600_NS6detail15normal_iteratorINS9_10device_ptrIiEEEESE_iNS9_4plusIvEEiEEDaPvRmT3_T4_T5_mT6_P12ihipStream_tbENKUlT_T0_E_clISt17integral_constantIbLb0EEST_IbLb1EEEEDaSP_SQ_EUlSP_E_NS1_11comp_targetILNS1_3genE8ELNS1_11target_archE1030ELNS1_3gpuE2ELNS1_3repE0EEENS1_30default_config_static_selectorELNS0_4arch9wavefront6targetE0EEEvT1_
	.globl	_ZN7rocprim17ROCPRIM_400000_NS6detail17trampoline_kernelINS0_14default_configENS1_20scan_config_selectorIiEEZZNS1_9scan_implILNS1_25lookback_scan_determinismE0ELb0ELb0ES3_N6thrust23THRUST_200600_302600_NS6detail15normal_iteratorINS9_10device_ptrIiEEEESE_iNS9_4plusIvEEiEEDaPvRmT3_T4_T5_mT6_P12ihipStream_tbENKUlT_T0_E_clISt17integral_constantIbLb0EEST_IbLb1EEEEDaSP_SQ_EUlSP_E_NS1_11comp_targetILNS1_3genE8ELNS1_11target_archE1030ELNS1_3gpuE2ELNS1_3repE0EEENS1_30default_config_static_selectorELNS0_4arch9wavefront6targetE0EEEvT1_
	.p2align	8
	.type	_ZN7rocprim17ROCPRIM_400000_NS6detail17trampoline_kernelINS0_14default_configENS1_20scan_config_selectorIiEEZZNS1_9scan_implILNS1_25lookback_scan_determinismE0ELb0ELb0ES3_N6thrust23THRUST_200600_302600_NS6detail15normal_iteratorINS9_10device_ptrIiEEEESE_iNS9_4plusIvEEiEEDaPvRmT3_T4_T5_mT6_P12ihipStream_tbENKUlT_T0_E_clISt17integral_constantIbLb0EEST_IbLb1EEEEDaSP_SQ_EUlSP_E_NS1_11comp_targetILNS1_3genE8ELNS1_11target_archE1030ELNS1_3gpuE2ELNS1_3repE0EEENS1_30default_config_static_selectorELNS0_4arch9wavefront6targetE0EEEvT1_,@function
_ZN7rocprim17ROCPRIM_400000_NS6detail17trampoline_kernelINS0_14default_configENS1_20scan_config_selectorIiEEZZNS1_9scan_implILNS1_25lookback_scan_determinismE0ELb0ELb0ES3_N6thrust23THRUST_200600_302600_NS6detail15normal_iteratorINS9_10device_ptrIiEEEESE_iNS9_4plusIvEEiEEDaPvRmT3_T4_T5_mT6_P12ihipStream_tbENKUlT_T0_E_clISt17integral_constantIbLb0EEST_IbLb1EEEEDaSP_SQ_EUlSP_E_NS1_11comp_targetILNS1_3genE8ELNS1_11target_archE1030ELNS1_3gpuE2ELNS1_3repE0EEENS1_30default_config_static_selectorELNS0_4arch9wavefront6targetE0EEEvT1_: ; @_ZN7rocprim17ROCPRIM_400000_NS6detail17trampoline_kernelINS0_14default_configENS1_20scan_config_selectorIiEEZZNS1_9scan_implILNS1_25lookback_scan_determinismE0ELb0ELb0ES3_N6thrust23THRUST_200600_302600_NS6detail15normal_iteratorINS9_10device_ptrIiEEEESE_iNS9_4plusIvEEiEEDaPvRmT3_T4_T5_mT6_P12ihipStream_tbENKUlT_T0_E_clISt17integral_constantIbLb0EEST_IbLb1EEEEDaSP_SQ_EUlSP_E_NS1_11comp_targetILNS1_3genE8ELNS1_11target_archE1030ELNS1_3gpuE2ELNS1_3repE0EEENS1_30default_config_static_selectorELNS0_4arch9wavefront6targetE0EEEvT1_
; %bb.0:
	.section	.rodata,"a",@progbits
	.p2align	6, 0x0
	.amdhsa_kernel _ZN7rocprim17ROCPRIM_400000_NS6detail17trampoline_kernelINS0_14default_configENS1_20scan_config_selectorIiEEZZNS1_9scan_implILNS1_25lookback_scan_determinismE0ELb0ELb0ES3_N6thrust23THRUST_200600_302600_NS6detail15normal_iteratorINS9_10device_ptrIiEEEESE_iNS9_4plusIvEEiEEDaPvRmT3_T4_T5_mT6_P12ihipStream_tbENKUlT_T0_E_clISt17integral_constantIbLb0EEST_IbLb1EEEEDaSP_SQ_EUlSP_E_NS1_11comp_targetILNS1_3genE8ELNS1_11target_archE1030ELNS1_3gpuE2ELNS1_3repE0EEENS1_30default_config_static_selectorELNS0_4arch9wavefront6targetE0EEEvT1_
		.amdhsa_group_segment_fixed_size 0
		.amdhsa_private_segment_fixed_size 0
		.amdhsa_kernarg_size 96
		.amdhsa_user_sgpr_count 15
		.amdhsa_user_sgpr_dispatch_ptr 0
		.amdhsa_user_sgpr_queue_ptr 0
		.amdhsa_user_sgpr_kernarg_segment_ptr 1
		.amdhsa_user_sgpr_dispatch_id 0
		.amdhsa_user_sgpr_private_segment_size 0
		.amdhsa_wavefront_size32 1
		.amdhsa_uses_dynamic_stack 0
		.amdhsa_enable_private_segment 0
		.amdhsa_system_sgpr_workgroup_id_x 1
		.amdhsa_system_sgpr_workgroup_id_y 0
		.amdhsa_system_sgpr_workgroup_id_z 0
		.amdhsa_system_sgpr_workgroup_info 0
		.amdhsa_system_vgpr_workitem_id 0
		.amdhsa_next_free_vgpr 1
		.amdhsa_next_free_sgpr 1
		.amdhsa_reserve_vcc 0
		.amdhsa_float_round_mode_32 0
		.amdhsa_float_round_mode_16_64 0
		.amdhsa_float_denorm_mode_32 3
		.amdhsa_float_denorm_mode_16_64 3
		.amdhsa_dx10_clamp 1
		.amdhsa_ieee_mode 1
		.amdhsa_fp16_overflow 0
		.amdhsa_workgroup_processor_mode 1
		.amdhsa_memory_ordered 1
		.amdhsa_forward_progress 0
		.amdhsa_shared_vgpr_count 0
		.amdhsa_exception_fp_ieee_invalid_op 0
		.amdhsa_exception_fp_denorm_src 0
		.amdhsa_exception_fp_ieee_div_zero 0
		.amdhsa_exception_fp_ieee_overflow 0
		.amdhsa_exception_fp_ieee_underflow 0
		.amdhsa_exception_fp_ieee_inexact 0
		.amdhsa_exception_int_div_zero 0
	.end_amdhsa_kernel
	.section	.text._ZN7rocprim17ROCPRIM_400000_NS6detail17trampoline_kernelINS0_14default_configENS1_20scan_config_selectorIiEEZZNS1_9scan_implILNS1_25lookback_scan_determinismE0ELb0ELb0ES3_N6thrust23THRUST_200600_302600_NS6detail15normal_iteratorINS9_10device_ptrIiEEEESE_iNS9_4plusIvEEiEEDaPvRmT3_T4_T5_mT6_P12ihipStream_tbENKUlT_T0_E_clISt17integral_constantIbLb0EEST_IbLb1EEEEDaSP_SQ_EUlSP_E_NS1_11comp_targetILNS1_3genE8ELNS1_11target_archE1030ELNS1_3gpuE2ELNS1_3repE0EEENS1_30default_config_static_selectorELNS0_4arch9wavefront6targetE0EEEvT1_,"axG",@progbits,_ZN7rocprim17ROCPRIM_400000_NS6detail17trampoline_kernelINS0_14default_configENS1_20scan_config_selectorIiEEZZNS1_9scan_implILNS1_25lookback_scan_determinismE0ELb0ELb0ES3_N6thrust23THRUST_200600_302600_NS6detail15normal_iteratorINS9_10device_ptrIiEEEESE_iNS9_4plusIvEEiEEDaPvRmT3_T4_T5_mT6_P12ihipStream_tbENKUlT_T0_E_clISt17integral_constantIbLb0EEST_IbLb1EEEEDaSP_SQ_EUlSP_E_NS1_11comp_targetILNS1_3genE8ELNS1_11target_archE1030ELNS1_3gpuE2ELNS1_3repE0EEENS1_30default_config_static_selectorELNS0_4arch9wavefront6targetE0EEEvT1_,comdat
.Lfunc_end76:
	.size	_ZN7rocprim17ROCPRIM_400000_NS6detail17trampoline_kernelINS0_14default_configENS1_20scan_config_selectorIiEEZZNS1_9scan_implILNS1_25lookback_scan_determinismE0ELb0ELb0ES3_N6thrust23THRUST_200600_302600_NS6detail15normal_iteratorINS9_10device_ptrIiEEEESE_iNS9_4plusIvEEiEEDaPvRmT3_T4_T5_mT6_P12ihipStream_tbENKUlT_T0_E_clISt17integral_constantIbLb0EEST_IbLb1EEEEDaSP_SQ_EUlSP_E_NS1_11comp_targetILNS1_3genE8ELNS1_11target_archE1030ELNS1_3gpuE2ELNS1_3repE0EEENS1_30default_config_static_selectorELNS0_4arch9wavefront6targetE0EEEvT1_, .Lfunc_end76-_ZN7rocprim17ROCPRIM_400000_NS6detail17trampoline_kernelINS0_14default_configENS1_20scan_config_selectorIiEEZZNS1_9scan_implILNS1_25lookback_scan_determinismE0ELb0ELb0ES3_N6thrust23THRUST_200600_302600_NS6detail15normal_iteratorINS9_10device_ptrIiEEEESE_iNS9_4plusIvEEiEEDaPvRmT3_T4_T5_mT6_P12ihipStream_tbENKUlT_T0_E_clISt17integral_constantIbLb0EEST_IbLb1EEEEDaSP_SQ_EUlSP_E_NS1_11comp_targetILNS1_3genE8ELNS1_11target_archE1030ELNS1_3gpuE2ELNS1_3repE0EEENS1_30default_config_static_selectorELNS0_4arch9wavefront6targetE0EEEvT1_
                                        ; -- End function
	.section	.AMDGPU.csdata,"",@progbits
; Kernel info:
; codeLenInByte = 0
; NumSgprs: 0
; NumVgprs: 0
; ScratchSize: 0
; MemoryBound: 0
; FloatMode: 240
; IeeeMode: 1
; LDSByteSize: 0 bytes/workgroup (compile time only)
; SGPRBlocks: 0
; VGPRBlocks: 0
; NumSGPRsForWavesPerEU: 1
; NumVGPRsForWavesPerEU: 1
; Occupancy: 16
; WaveLimiterHint : 0
; COMPUTE_PGM_RSRC2:SCRATCH_EN: 0
; COMPUTE_PGM_RSRC2:USER_SGPR: 15
; COMPUTE_PGM_RSRC2:TRAP_HANDLER: 0
; COMPUTE_PGM_RSRC2:TGID_X_EN: 1
; COMPUTE_PGM_RSRC2:TGID_Y_EN: 0
; COMPUTE_PGM_RSRC2:TGID_Z_EN: 0
; COMPUTE_PGM_RSRC2:TIDIG_COMP_CNT: 0
	.section	.text._ZN7rocprim17ROCPRIM_400000_NS6detail17trampoline_kernelINS0_14default_configENS1_20scan_config_selectorIiEEZZNS1_9scan_implILNS1_25lookback_scan_determinismE0ELb0ELb0ES3_N6thrust23THRUST_200600_302600_NS6detail15normal_iteratorINS9_10device_ptrIiEEEESE_iNS9_4plusIvEEiEEDaPvRmT3_T4_T5_mT6_P12ihipStream_tbENKUlT_T0_E_clISt17integral_constantIbLb0EEST_IbLb1EEEEDaSP_SQ_EUlSP_E0_NS1_11comp_targetILNS1_3genE0ELNS1_11target_archE4294967295ELNS1_3gpuE0ELNS1_3repE0EEENS1_30default_config_static_selectorELNS0_4arch9wavefront6targetE0EEEvT1_,"axG",@progbits,_ZN7rocprim17ROCPRIM_400000_NS6detail17trampoline_kernelINS0_14default_configENS1_20scan_config_selectorIiEEZZNS1_9scan_implILNS1_25lookback_scan_determinismE0ELb0ELb0ES3_N6thrust23THRUST_200600_302600_NS6detail15normal_iteratorINS9_10device_ptrIiEEEESE_iNS9_4plusIvEEiEEDaPvRmT3_T4_T5_mT6_P12ihipStream_tbENKUlT_T0_E_clISt17integral_constantIbLb0EEST_IbLb1EEEEDaSP_SQ_EUlSP_E0_NS1_11comp_targetILNS1_3genE0ELNS1_11target_archE4294967295ELNS1_3gpuE0ELNS1_3repE0EEENS1_30default_config_static_selectorELNS0_4arch9wavefront6targetE0EEEvT1_,comdat
	.protected	_ZN7rocprim17ROCPRIM_400000_NS6detail17trampoline_kernelINS0_14default_configENS1_20scan_config_selectorIiEEZZNS1_9scan_implILNS1_25lookback_scan_determinismE0ELb0ELb0ES3_N6thrust23THRUST_200600_302600_NS6detail15normal_iteratorINS9_10device_ptrIiEEEESE_iNS9_4plusIvEEiEEDaPvRmT3_T4_T5_mT6_P12ihipStream_tbENKUlT_T0_E_clISt17integral_constantIbLb0EEST_IbLb1EEEEDaSP_SQ_EUlSP_E0_NS1_11comp_targetILNS1_3genE0ELNS1_11target_archE4294967295ELNS1_3gpuE0ELNS1_3repE0EEENS1_30default_config_static_selectorELNS0_4arch9wavefront6targetE0EEEvT1_ ; -- Begin function _ZN7rocprim17ROCPRIM_400000_NS6detail17trampoline_kernelINS0_14default_configENS1_20scan_config_selectorIiEEZZNS1_9scan_implILNS1_25lookback_scan_determinismE0ELb0ELb0ES3_N6thrust23THRUST_200600_302600_NS6detail15normal_iteratorINS9_10device_ptrIiEEEESE_iNS9_4plusIvEEiEEDaPvRmT3_T4_T5_mT6_P12ihipStream_tbENKUlT_T0_E_clISt17integral_constantIbLb0EEST_IbLb1EEEEDaSP_SQ_EUlSP_E0_NS1_11comp_targetILNS1_3genE0ELNS1_11target_archE4294967295ELNS1_3gpuE0ELNS1_3repE0EEENS1_30default_config_static_selectorELNS0_4arch9wavefront6targetE0EEEvT1_
	.globl	_ZN7rocprim17ROCPRIM_400000_NS6detail17trampoline_kernelINS0_14default_configENS1_20scan_config_selectorIiEEZZNS1_9scan_implILNS1_25lookback_scan_determinismE0ELb0ELb0ES3_N6thrust23THRUST_200600_302600_NS6detail15normal_iteratorINS9_10device_ptrIiEEEESE_iNS9_4plusIvEEiEEDaPvRmT3_T4_T5_mT6_P12ihipStream_tbENKUlT_T0_E_clISt17integral_constantIbLb0EEST_IbLb1EEEEDaSP_SQ_EUlSP_E0_NS1_11comp_targetILNS1_3genE0ELNS1_11target_archE4294967295ELNS1_3gpuE0ELNS1_3repE0EEENS1_30default_config_static_selectorELNS0_4arch9wavefront6targetE0EEEvT1_
	.p2align	8
	.type	_ZN7rocprim17ROCPRIM_400000_NS6detail17trampoline_kernelINS0_14default_configENS1_20scan_config_selectorIiEEZZNS1_9scan_implILNS1_25lookback_scan_determinismE0ELb0ELb0ES3_N6thrust23THRUST_200600_302600_NS6detail15normal_iteratorINS9_10device_ptrIiEEEESE_iNS9_4plusIvEEiEEDaPvRmT3_T4_T5_mT6_P12ihipStream_tbENKUlT_T0_E_clISt17integral_constantIbLb0EEST_IbLb1EEEEDaSP_SQ_EUlSP_E0_NS1_11comp_targetILNS1_3genE0ELNS1_11target_archE4294967295ELNS1_3gpuE0ELNS1_3repE0EEENS1_30default_config_static_selectorELNS0_4arch9wavefront6targetE0EEEvT1_,@function
_ZN7rocprim17ROCPRIM_400000_NS6detail17trampoline_kernelINS0_14default_configENS1_20scan_config_selectorIiEEZZNS1_9scan_implILNS1_25lookback_scan_determinismE0ELb0ELb0ES3_N6thrust23THRUST_200600_302600_NS6detail15normal_iteratorINS9_10device_ptrIiEEEESE_iNS9_4plusIvEEiEEDaPvRmT3_T4_T5_mT6_P12ihipStream_tbENKUlT_T0_E_clISt17integral_constantIbLb0EEST_IbLb1EEEEDaSP_SQ_EUlSP_E0_NS1_11comp_targetILNS1_3genE0ELNS1_11target_archE4294967295ELNS1_3gpuE0ELNS1_3repE0EEENS1_30default_config_static_selectorELNS0_4arch9wavefront6targetE0EEEvT1_: ; @_ZN7rocprim17ROCPRIM_400000_NS6detail17trampoline_kernelINS0_14default_configENS1_20scan_config_selectorIiEEZZNS1_9scan_implILNS1_25lookback_scan_determinismE0ELb0ELb0ES3_N6thrust23THRUST_200600_302600_NS6detail15normal_iteratorINS9_10device_ptrIiEEEESE_iNS9_4plusIvEEiEEDaPvRmT3_T4_T5_mT6_P12ihipStream_tbENKUlT_T0_E_clISt17integral_constantIbLb0EEST_IbLb1EEEEDaSP_SQ_EUlSP_E0_NS1_11comp_targetILNS1_3genE0ELNS1_11target_archE4294967295ELNS1_3gpuE0ELNS1_3repE0EEENS1_30default_config_static_selectorELNS0_4arch9wavefront6targetE0EEEvT1_
; %bb.0:
	.section	.rodata,"a",@progbits
	.p2align	6, 0x0
	.amdhsa_kernel _ZN7rocprim17ROCPRIM_400000_NS6detail17trampoline_kernelINS0_14default_configENS1_20scan_config_selectorIiEEZZNS1_9scan_implILNS1_25lookback_scan_determinismE0ELb0ELb0ES3_N6thrust23THRUST_200600_302600_NS6detail15normal_iteratorINS9_10device_ptrIiEEEESE_iNS9_4plusIvEEiEEDaPvRmT3_T4_T5_mT6_P12ihipStream_tbENKUlT_T0_E_clISt17integral_constantIbLb0EEST_IbLb1EEEEDaSP_SQ_EUlSP_E0_NS1_11comp_targetILNS1_3genE0ELNS1_11target_archE4294967295ELNS1_3gpuE0ELNS1_3repE0EEENS1_30default_config_static_selectorELNS0_4arch9wavefront6targetE0EEEvT1_
		.amdhsa_group_segment_fixed_size 0
		.amdhsa_private_segment_fixed_size 0
		.amdhsa_kernarg_size 32
		.amdhsa_user_sgpr_count 15
		.amdhsa_user_sgpr_dispatch_ptr 0
		.amdhsa_user_sgpr_queue_ptr 0
		.amdhsa_user_sgpr_kernarg_segment_ptr 1
		.amdhsa_user_sgpr_dispatch_id 0
		.amdhsa_user_sgpr_private_segment_size 0
		.amdhsa_wavefront_size32 1
		.amdhsa_uses_dynamic_stack 0
		.amdhsa_enable_private_segment 0
		.amdhsa_system_sgpr_workgroup_id_x 1
		.amdhsa_system_sgpr_workgroup_id_y 0
		.amdhsa_system_sgpr_workgroup_id_z 0
		.amdhsa_system_sgpr_workgroup_info 0
		.amdhsa_system_vgpr_workitem_id 0
		.amdhsa_next_free_vgpr 1
		.amdhsa_next_free_sgpr 1
		.amdhsa_reserve_vcc 0
		.amdhsa_float_round_mode_32 0
		.amdhsa_float_round_mode_16_64 0
		.amdhsa_float_denorm_mode_32 3
		.amdhsa_float_denorm_mode_16_64 3
		.amdhsa_dx10_clamp 1
		.amdhsa_ieee_mode 1
		.amdhsa_fp16_overflow 0
		.amdhsa_workgroup_processor_mode 1
		.amdhsa_memory_ordered 1
		.amdhsa_forward_progress 0
		.amdhsa_shared_vgpr_count 0
		.amdhsa_exception_fp_ieee_invalid_op 0
		.amdhsa_exception_fp_denorm_src 0
		.amdhsa_exception_fp_ieee_div_zero 0
		.amdhsa_exception_fp_ieee_overflow 0
		.amdhsa_exception_fp_ieee_underflow 0
		.amdhsa_exception_fp_ieee_inexact 0
		.amdhsa_exception_int_div_zero 0
	.end_amdhsa_kernel
	.section	.text._ZN7rocprim17ROCPRIM_400000_NS6detail17trampoline_kernelINS0_14default_configENS1_20scan_config_selectorIiEEZZNS1_9scan_implILNS1_25lookback_scan_determinismE0ELb0ELb0ES3_N6thrust23THRUST_200600_302600_NS6detail15normal_iteratorINS9_10device_ptrIiEEEESE_iNS9_4plusIvEEiEEDaPvRmT3_T4_T5_mT6_P12ihipStream_tbENKUlT_T0_E_clISt17integral_constantIbLb0EEST_IbLb1EEEEDaSP_SQ_EUlSP_E0_NS1_11comp_targetILNS1_3genE0ELNS1_11target_archE4294967295ELNS1_3gpuE0ELNS1_3repE0EEENS1_30default_config_static_selectorELNS0_4arch9wavefront6targetE0EEEvT1_,"axG",@progbits,_ZN7rocprim17ROCPRIM_400000_NS6detail17trampoline_kernelINS0_14default_configENS1_20scan_config_selectorIiEEZZNS1_9scan_implILNS1_25lookback_scan_determinismE0ELb0ELb0ES3_N6thrust23THRUST_200600_302600_NS6detail15normal_iteratorINS9_10device_ptrIiEEEESE_iNS9_4plusIvEEiEEDaPvRmT3_T4_T5_mT6_P12ihipStream_tbENKUlT_T0_E_clISt17integral_constantIbLb0EEST_IbLb1EEEEDaSP_SQ_EUlSP_E0_NS1_11comp_targetILNS1_3genE0ELNS1_11target_archE4294967295ELNS1_3gpuE0ELNS1_3repE0EEENS1_30default_config_static_selectorELNS0_4arch9wavefront6targetE0EEEvT1_,comdat
.Lfunc_end77:
	.size	_ZN7rocprim17ROCPRIM_400000_NS6detail17trampoline_kernelINS0_14default_configENS1_20scan_config_selectorIiEEZZNS1_9scan_implILNS1_25lookback_scan_determinismE0ELb0ELb0ES3_N6thrust23THRUST_200600_302600_NS6detail15normal_iteratorINS9_10device_ptrIiEEEESE_iNS9_4plusIvEEiEEDaPvRmT3_T4_T5_mT6_P12ihipStream_tbENKUlT_T0_E_clISt17integral_constantIbLb0EEST_IbLb1EEEEDaSP_SQ_EUlSP_E0_NS1_11comp_targetILNS1_3genE0ELNS1_11target_archE4294967295ELNS1_3gpuE0ELNS1_3repE0EEENS1_30default_config_static_selectorELNS0_4arch9wavefront6targetE0EEEvT1_, .Lfunc_end77-_ZN7rocprim17ROCPRIM_400000_NS6detail17trampoline_kernelINS0_14default_configENS1_20scan_config_selectorIiEEZZNS1_9scan_implILNS1_25lookback_scan_determinismE0ELb0ELb0ES3_N6thrust23THRUST_200600_302600_NS6detail15normal_iteratorINS9_10device_ptrIiEEEESE_iNS9_4plusIvEEiEEDaPvRmT3_T4_T5_mT6_P12ihipStream_tbENKUlT_T0_E_clISt17integral_constantIbLb0EEST_IbLb1EEEEDaSP_SQ_EUlSP_E0_NS1_11comp_targetILNS1_3genE0ELNS1_11target_archE4294967295ELNS1_3gpuE0ELNS1_3repE0EEENS1_30default_config_static_selectorELNS0_4arch9wavefront6targetE0EEEvT1_
                                        ; -- End function
	.section	.AMDGPU.csdata,"",@progbits
; Kernel info:
; codeLenInByte = 0
; NumSgprs: 0
; NumVgprs: 0
; ScratchSize: 0
; MemoryBound: 0
; FloatMode: 240
; IeeeMode: 1
; LDSByteSize: 0 bytes/workgroup (compile time only)
; SGPRBlocks: 0
; VGPRBlocks: 0
; NumSGPRsForWavesPerEU: 1
; NumVGPRsForWavesPerEU: 1
; Occupancy: 16
; WaveLimiterHint : 0
; COMPUTE_PGM_RSRC2:SCRATCH_EN: 0
; COMPUTE_PGM_RSRC2:USER_SGPR: 15
; COMPUTE_PGM_RSRC2:TRAP_HANDLER: 0
; COMPUTE_PGM_RSRC2:TGID_X_EN: 1
; COMPUTE_PGM_RSRC2:TGID_Y_EN: 0
; COMPUTE_PGM_RSRC2:TGID_Z_EN: 0
; COMPUTE_PGM_RSRC2:TIDIG_COMP_CNT: 0
	.section	.text._ZN7rocprim17ROCPRIM_400000_NS6detail17trampoline_kernelINS0_14default_configENS1_20scan_config_selectorIiEEZZNS1_9scan_implILNS1_25lookback_scan_determinismE0ELb0ELb0ES3_N6thrust23THRUST_200600_302600_NS6detail15normal_iteratorINS9_10device_ptrIiEEEESE_iNS9_4plusIvEEiEEDaPvRmT3_T4_T5_mT6_P12ihipStream_tbENKUlT_T0_E_clISt17integral_constantIbLb0EEST_IbLb1EEEEDaSP_SQ_EUlSP_E0_NS1_11comp_targetILNS1_3genE5ELNS1_11target_archE942ELNS1_3gpuE9ELNS1_3repE0EEENS1_30default_config_static_selectorELNS0_4arch9wavefront6targetE0EEEvT1_,"axG",@progbits,_ZN7rocprim17ROCPRIM_400000_NS6detail17trampoline_kernelINS0_14default_configENS1_20scan_config_selectorIiEEZZNS1_9scan_implILNS1_25lookback_scan_determinismE0ELb0ELb0ES3_N6thrust23THRUST_200600_302600_NS6detail15normal_iteratorINS9_10device_ptrIiEEEESE_iNS9_4plusIvEEiEEDaPvRmT3_T4_T5_mT6_P12ihipStream_tbENKUlT_T0_E_clISt17integral_constantIbLb0EEST_IbLb1EEEEDaSP_SQ_EUlSP_E0_NS1_11comp_targetILNS1_3genE5ELNS1_11target_archE942ELNS1_3gpuE9ELNS1_3repE0EEENS1_30default_config_static_selectorELNS0_4arch9wavefront6targetE0EEEvT1_,comdat
	.protected	_ZN7rocprim17ROCPRIM_400000_NS6detail17trampoline_kernelINS0_14default_configENS1_20scan_config_selectorIiEEZZNS1_9scan_implILNS1_25lookback_scan_determinismE0ELb0ELb0ES3_N6thrust23THRUST_200600_302600_NS6detail15normal_iteratorINS9_10device_ptrIiEEEESE_iNS9_4plusIvEEiEEDaPvRmT3_T4_T5_mT6_P12ihipStream_tbENKUlT_T0_E_clISt17integral_constantIbLb0EEST_IbLb1EEEEDaSP_SQ_EUlSP_E0_NS1_11comp_targetILNS1_3genE5ELNS1_11target_archE942ELNS1_3gpuE9ELNS1_3repE0EEENS1_30default_config_static_selectorELNS0_4arch9wavefront6targetE0EEEvT1_ ; -- Begin function _ZN7rocprim17ROCPRIM_400000_NS6detail17trampoline_kernelINS0_14default_configENS1_20scan_config_selectorIiEEZZNS1_9scan_implILNS1_25lookback_scan_determinismE0ELb0ELb0ES3_N6thrust23THRUST_200600_302600_NS6detail15normal_iteratorINS9_10device_ptrIiEEEESE_iNS9_4plusIvEEiEEDaPvRmT3_T4_T5_mT6_P12ihipStream_tbENKUlT_T0_E_clISt17integral_constantIbLb0EEST_IbLb1EEEEDaSP_SQ_EUlSP_E0_NS1_11comp_targetILNS1_3genE5ELNS1_11target_archE942ELNS1_3gpuE9ELNS1_3repE0EEENS1_30default_config_static_selectorELNS0_4arch9wavefront6targetE0EEEvT1_
	.globl	_ZN7rocprim17ROCPRIM_400000_NS6detail17trampoline_kernelINS0_14default_configENS1_20scan_config_selectorIiEEZZNS1_9scan_implILNS1_25lookback_scan_determinismE0ELb0ELb0ES3_N6thrust23THRUST_200600_302600_NS6detail15normal_iteratorINS9_10device_ptrIiEEEESE_iNS9_4plusIvEEiEEDaPvRmT3_T4_T5_mT6_P12ihipStream_tbENKUlT_T0_E_clISt17integral_constantIbLb0EEST_IbLb1EEEEDaSP_SQ_EUlSP_E0_NS1_11comp_targetILNS1_3genE5ELNS1_11target_archE942ELNS1_3gpuE9ELNS1_3repE0EEENS1_30default_config_static_selectorELNS0_4arch9wavefront6targetE0EEEvT1_
	.p2align	8
	.type	_ZN7rocprim17ROCPRIM_400000_NS6detail17trampoline_kernelINS0_14default_configENS1_20scan_config_selectorIiEEZZNS1_9scan_implILNS1_25lookback_scan_determinismE0ELb0ELb0ES3_N6thrust23THRUST_200600_302600_NS6detail15normal_iteratorINS9_10device_ptrIiEEEESE_iNS9_4plusIvEEiEEDaPvRmT3_T4_T5_mT6_P12ihipStream_tbENKUlT_T0_E_clISt17integral_constantIbLb0EEST_IbLb1EEEEDaSP_SQ_EUlSP_E0_NS1_11comp_targetILNS1_3genE5ELNS1_11target_archE942ELNS1_3gpuE9ELNS1_3repE0EEENS1_30default_config_static_selectorELNS0_4arch9wavefront6targetE0EEEvT1_,@function
_ZN7rocprim17ROCPRIM_400000_NS6detail17trampoline_kernelINS0_14default_configENS1_20scan_config_selectorIiEEZZNS1_9scan_implILNS1_25lookback_scan_determinismE0ELb0ELb0ES3_N6thrust23THRUST_200600_302600_NS6detail15normal_iteratorINS9_10device_ptrIiEEEESE_iNS9_4plusIvEEiEEDaPvRmT3_T4_T5_mT6_P12ihipStream_tbENKUlT_T0_E_clISt17integral_constantIbLb0EEST_IbLb1EEEEDaSP_SQ_EUlSP_E0_NS1_11comp_targetILNS1_3genE5ELNS1_11target_archE942ELNS1_3gpuE9ELNS1_3repE0EEENS1_30default_config_static_selectorELNS0_4arch9wavefront6targetE0EEEvT1_: ; @_ZN7rocprim17ROCPRIM_400000_NS6detail17trampoline_kernelINS0_14default_configENS1_20scan_config_selectorIiEEZZNS1_9scan_implILNS1_25lookback_scan_determinismE0ELb0ELb0ES3_N6thrust23THRUST_200600_302600_NS6detail15normal_iteratorINS9_10device_ptrIiEEEESE_iNS9_4plusIvEEiEEDaPvRmT3_T4_T5_mT6_P12ihipStream_tbENKUlT_T0_E_clISt17integral_constantIbLb0EEST_IbLb1EEEEDaSP_SQ_EUlSP_E0_NS1_11comp_targetILNS1_3genE5ELNS1_11target_archE942ELNS1_3gpuE9ELNS1_3repE0EEENS1_30default_config_static_selectorELNS0_4arch9wavefront6targetE0EEEvT1_
; %bb.0:
	.section	.rodata,"a",@progbits
	.p2align	6, 0x0
	.amdhsa_kernel _ZN7rocprim17ROCPRIM_400000_NS6detail17trampoline_kernelINS0_14default_configENS1_20scan_config_selectorIiEEZZNS1_9scan_implILNS1_25lookback_scan_determinismE0ELb0ELb0ES3_N6thrust23THRUST_200600_302600_NS6detail15normal_iteratorINS9_10device_ptrIiEEEESE_iNS9_4plusIvEEiEEDaPvRmT3_T4_T5_mT6_P12ihipStream_tbENKUlT_T0_E_clISt17integral_constantIbLb0EEST_IbLb1EEEEDaSP_SQ_EUlSP_E0_NS1_11comp_targetILNS1_3genE5ELNS1_11target_archE942ELNS1_3gpuE9ELNS1_3repE0EEENS1_30default_config_static_selectorELNS0_4arch9wavefront6targetE0EEEvT1_
		.amdhsa_group_segment_fixed_size 0
		.amdhsa_private_segment_fixed_size 0
		.amdhsa_kernarg_size 32
		.amdhsa_user_sgpr_count 15
		.amdhsa_user_sgpr_dispatch_ptr 0
		.amdhsa_user_sgpr_queue_ptr 0
		.amdhsa_user_sgpr_kernarg_segment_ptr 1
		.amdhsa_user_sgpr_dispatch_id 0
		.amdhsa_user_sgpr_private_segment_size 0
		.amdhsa_wavefront_size32 1
		.amdhsa_uses_dynamic_stack 0
		.amdhsa_enable_private_segment 0
		.amdhsa_system_sgpr_workgroup_id_x 1
		.amdhsa_system_sgpr_workgroup_id_y 0
		.amdhsa_system_sgpr_workgroup_id_z 0
		.amdhsa_system_sgpr_workgroup_info 0
		.amdhsa_system_vgpr_workitem_id 0
		.amdhsa_next_free_vgpr 1
		.amdhsa_next_free_sgpr 1
		.amdhsa_reserve_vcc 0
		.amdhsa_float_round_mode_32 0
		.amdhsa_float_round_mode_16_64 0
		.amdhsa_float_denorm_mode_32 3
		.amdhsa_float_denorm_mode_16_64 3
		.amdhsa_dx10_clamp 1
		.amdhsa_ieee_mode 1
		.amdhsa_fp16_overflow 0
		.amdhsa_workgroup_processor_mode 1
		.amdhsa_memory_ordered 1
		.amdhsa_forward_progress 0
		.amdhsa_shared_vgpr_count 0
		.amdhsa_exception_fp_ieee_invalid_op 0
		.amdhsa_exception_fp_denorm_src 0
		.amdhsa_exception_fp_ieee_div_zero 0
		.amdhsa_exception_fp_ieee_overflow 0
		.amdhsa_exception_fp_ieee_underflow 0
		.amdhsa_exception_fp_ieee_inexact 0
		.amdhsa_exception_int_div_zero 0
	.end_amdhsa_kernel
	.section	.text._ZN7rocprim17ROCPRIM_400000_NS6detail17trampoline_kernelINS0_14default_configENS1_20scan_config_selectorIiEEZZNS1_9scan_implILNS1_25lookback_scan_determinismE0ELb0ELb0ES3_N6thrust23THRUST_200600_302600_NS6detail15normal_iteratorINS9_10device_ptrIiEEEESE_iNS9_4plusIvEEiEEDaPvRmT3_T4_T5_mT6_P12ihipStream_tbENKUlT_T0_E_clISt17integral_constantIbLb0EEST_IbLb1EEEEDaSP_SQ_EUlSP_E0_NS1_11comp_targetILNS1_3genE5ELNS1_11target_archE942ELNS1_3gpuE9ELNS1_3repE0EEENS1_30default_config_static_selectorELNS0_4arch9wavefront6targetE0EEEvT1_,"axG",@progbits,_ZN7rocprim17ROCPRIM_400000_NS6detail17trampoline_kernelINS0_14default_configENS1_20scan_config_selectorIiEEZZNS1_9scan_implILNS1_25lookback_scan_determinismE0ELb0ELb0ES3_N6thrust23THRUST_200600_302600_NS6detail15normal_iteratorINS9_10device_ptrIiEEEESE_iNS9_4plusIvEEiEEDaPvRmT3_T4_T5_mT6_P12ihipStream_tbENKUlT_T0_E_clISt17integral_constantIbLb0EEST_IbLb1EEEEDaSP_SQ_EUlSP_E0_NS1_11comp_targetILNS1_3genE5ELNS1_11target_archE942ELNS1_3gpuE9ELNS1_3repE0EEENS1_30default_config_static_selectorELNS0_4arch9wavefront6targetE0EEEvT1_,comdat
.Lfunc_end78:
	.size	_ZN7rocprim17ROCPRIM_400000_NS6detail17trampoline_kernelINS0_14default_configENS1_20scan_config_selectorIiEEZZNS1_9scan_implILNS1_25lookback_scan_determinismE0ELb0ELb0ES3_N6thrust23THRUST_200600_302600_NS6detail15normal_iteratorINS9_10device_ptrIiEEEESE_iNS9_4plusIvEEiEEDaPvRmT3_T4_T5_mT6_P12ihipStream_tbENKUlT_T0_E_clISt17integral_constantIbLb0EEST_IbLb1EEEEDaSP_SQ_EUlSP_E0_NS1_11comp_targetILNS1_3genE5ELNS1_11target_archE942ELNS1_3gpuE9ELNS1_3repE0EEENS1_30default_config_static_selectorELNS0_4arch9wavefront6targetE0EEEvT1_, .Lfunc_end78-_ZN7rocprim17ROCPRIM_400000_NS6detail17trampoline_kernelINS0_14default_configENS1_20scan_config_selectorIiEEZZNS1_9scan_implILNS1_25lookback_scan_determinismE0ELb0ELb0ES3_N6thrust23THRUST_200600_302600_NS6detail15normal_iteratorINS9_10device_ptrIiEEEESE_iNS9_4plusIvEEiEEDaPvRmT3_T4_T5_mT6_P12ihipStream_tbENKUlT_T0_E_clISt17integral_constantIbLb0EEST_IbLb1EEEEDaSP_SQ_EUlSP_E0_NS1_11comp_targetILNS1_3genE5ELNS1_11target_archE942ELNS1_3gpuE9ELNS1_3repE0EEENS1_30default_config_static_selectorELNS0_4arch9wavefront6targetE0EEEvT1_
                                        ; -- End function
	.section	.AMDGPU.csdata,"",@progbits
; Kernel info:
; codeLenInByte = 0
; NumSgprs: 0
; NumVgprs: 0
; ScratchSize: 0
; MemoryBound: 0
; FloatMode: 240
; IeeeMode: 1
; LDSByteSize: 0 bytes/workgroup (compile time only)
; SGPRBlocks: 0
; VGPRBlocks: 0
; NumSGPRsForWavesPerEU: 1
; NumVGPRsForWavesPerEU: 1
; Occupancy: 16
; WaveLimiterHint : 0
; COMPUTE_PGM_RSRC2:SCRATCH_EN: 0
; COMPUTE_PGM_RSRC2:USER_SGPR: 15
; COMPUTE_PGM_RSRC2:TRAP_HANDLER: 0
; COMPUTE_PGM_RSRC2:TGID_X_EN: 1
; COMPUTE_PGM_RSRC2:TGID_Y_EN: 0
; COMPUTE_PGM_RSRC2:TGID_Z_EN: 0
; COMPUTE_PGM_RSRC2:TIDIG_COMP_CNT: 0
	.section	.text._ZN7rocprim17ROCPRIM_400000_NS6detail17trampoline_kernelINS0_14default_configENS1_20scan_config_selectorIiEEZZNS1_9scan_implILNS1_25lookback_scan_determinismE0ELb0ELb0ES3_N6thrust23THRUST_200600_302600_NS6detail15normal_iteratorINS9_10device_ptrIiEEEESE_iNS9_4plusIvEEiEEDaPvRmT3_T4_T5_mT6_P12ihipStream_tbENKUlT_T0_E_clISt17integral_constantIbLb0EEST_IbLb1EEEEDaSP_SQ_EUlSP_E0_NS1_11comp_targetILNS1_3genE4ELNS1_11target_archE910ELNS1_3gpuE8ELNS1_3repE0EEENS1_30default_config_static_selectorELNS0_4arch9wavefront6targetE0EEEvT1_,"axG",@progbits,_ZN7rocprim17ROCPRIM_400000_NS6detail17trampoline_kernelINS0_14default_configENS1_20scan_config_selectorIiEEZZNS1_9scan_implILNS1_25lookback_scan_determinismE0ELb0ELb0ES3_N6thrust23THRUST_200600_302600_NS6detail15normal_iteratorINS9_10device_ptrIiEEEESE_iNS9_4plusIvEEiEEDaPvRmT3_T4_T5_mT6_P12ihipStream_tbENKUlT_T0_E_clISt17integral_constantIbLb0EEST_IbLb1EEEEDaSP_SQ_EUlSP_E0_NS1_11comp_targetILNS1_3genE4ELNS1_11target_archE910ELNS1_3gpuE8ELNS1_3repE0EEENS1_30default_config_static_selectorELNS0_4arch9wavefront6targetE0EEEvT1_,comdat
	.protected	_ZN7rocprim17ROCPRIM_400000_NS6detail17trampoline_kernelINS0_14default_configENS1_20scan_config_selectorIiEEZZNS1_9scan_implILNS1_25lookback_scan_determinismE0ELb0ELb0ES3_N6thrust23THRUST_200600_302600_NS6detail15normal_iteratorINS9_10device_ptrIiEEEESE_iNS9_4plusIvEEiEEDaPvRmT3_T4_T5_mT6_P12ihipStream_tbENKUlT_T0_E_clISt17integral_constantIbLb0EEST_IbLb1EEEEDaSP_SQ_EUlSP_E0_NS1_11comp_targetILNS1_3genE4ELNS1_11target_archE910ELNS1_3gpuE8ELNS1_3repE0EEENS1_30default_config_static_selectorELNS0_4arch9wavefront6targetE0EEEvT1_ ; -- Begin function _ZN7rocprim17ROCPRIM_400000_NS6detail17trampoline_kernelINS0_14default_configENS1_20scan_config_selectorIiEEZZNS1_9scan_implILNS1_25lookback_scan_determinismE0ELb0ELb0ES3_N6thrust23THRUST_200600_302600_NS6detail15normal_iteratorINS9_10device_ptrIiEEEESE_iNS9_4plusIvEEiEEDaPvRmT3_T4_T5_mT6_P12ihipStream_tbENKUlT_T0_E_clISt17integral_constantIbLb0EEST_IbLb1EEEEDaSP_SQ_EUlSP_E0_NS1_11comp_targetILNS1_3genE4ELNS1_11target_archE910ELNS1_3gpuE8ELNS1_3repE0EEENS1_30default_config_static_selectorELNS0_4arch9wavefront6targetE0EEEvT1_
	.globl	_ZN7rocprim17ROCPRIM_400000_NS6detail17trampoline_kernelINS0_14default_configENS1_20scan_config_selectorIiEEZZNS1_9scan_implILNS1_25lookback_scan_determinismE0ELb0ELb0ES3_N6thrust23THRUST_200600_302600_NS6detail15normal_iteratorINS9_10device_ptrIiEEEESE_iNS9_4plusIvEEiEEDaPvRmT3_T4_T5_mT6_P12ihipStream_tbENKUlT_T0_E_clISt17integral_constantIbLb0EEST_IbLb1EEEEDaSP_SQ_EUlSP_E0_NS1_11comp_targetILNS1_3genE4ELNS1_11target_archE910ELNS1_3gpuE8ELNS1_3repE0EEENS1_30default_config_static_selectorELNS0_4arch9wavefront6targetE0EEEvT1_
	.p2align	8
	.type	_ZN7rocprim17ROCPRIM_400000_NS6detail17trampoline_kernelINS0_14default_configENS1_20scan_config_selectorIiEEZZNS1_9scan_implILNS1_25lookback_scan_determinismE0ELb0ELb0ES3_N6thrust23THRUST_200600_302600_NS6detail15normal_iteratorINS9_10device_ptrIiEEEESE_iNS9_4plusIvEEiEEDaPvRmT3_T4_T5_mT6_P12ihipStream_tbENKUlT_T0_E_clISt17integral_constantIbLb0EEST_IbLb1EEEEDaSP_SQ_EUlSP_E0_NS1_11comp_targetILNS1_3genE4ELNS1_11target_archE910ELNS1_3gpuE8ELNS1_3repE0EEENS1_30default_config_static_selectorELNS0_4arch9wavefront6targetE0EEEvT1_,@function
_ZN7rocprim17ROCPRIM_400000_NS6detail17trampoline_kernelINS0_14default_configENS1_20scan_config_selectorIiEEZZNS1_9scan_implILNS1_25lookback_scan_determinismE0ELb0ELb0ES3_N6thrust23THRUST_200600_302600_NS6detail15normal_iteratorINS9_10device_ptrIiEEEESE_iNS9_4plusIvEEiEEDaPvRmT3_T4_T5_mT6_P12ihipStream_tbENKUlT_T0_E_clISt17integral_constantIbLb0EEST_IbLb1EEEEDaSP_SQ_EUlSP_E0_NS1_11comp_targetILNS1_3genE4ELNS1_11target_archE910ELNS1_3gpuE8ELNS1_3repE0EEENS1_30default_config_static_selectorELNS0_4arch9wavefront6targetE0EEEvT1_: ; @_ZN7rocprim17ROCPRIM_400000_NS6detail17trampoline_kernelINS0_14default_configENS1_20scan_config_selectorIiEEZZNS1_9scan_implILNS1_25lookback_scan_determinismE0ELb0ELb0ES3_N6thrust23THRUST_200600_302600_NS6detail15normal_iteratorINS9_10device_ptrIiEEEESE_iNS9_4plusIvEEiEEDaPvRmT3_T4_T5_mT6_P12ihipStream_tbENKUlT_T0_E_clISt17integral_constantIbLb0EEST_IbLb1EEEEDaSP_SQ_EUlSP_E0_NS1_11comp_targetILNS1_3genE4ELNS1_11target_archE910ELNS1_3gpuE8ELNS1_3repE0EEENS1_30default_config_static_selectorELNS0_4arch9wavefront6targetE0EEEvT1_
; %bb.0:
	.section	.rodata,"a",@progbits
	.p2align	6, 0x0
	.amdhsa_kernel _ZN7rocprim17ROCPRIM_400000_NS6detail17trampoline_kernelINS0_14default_configENS1_20scan_config_selectorIiEEZZNS1_9scan_implILNS1_25lookback_scan_determinismE0ELb0ELb0ES3_N6thrust23THRUST_200600_302600_NS6detail15normal_iteratorINS9_10device_ptrIiEEEESE_iNS9_4plusIvEEiEEDaPvRmT3_T4_T5_mT6_P12ihipStream_tbENKUlT_T0_E_clISt17integral_constantIbLb0EEST_IbLb1EEEEDaSP_SQ_EUlSP_E0_NS1_11comp_targetILNS1_3genE4ELNS1_11target_archE910ELNS1_3gpuE8ELNS1_3repE0EEENS1_30default_config_static_selectorELNS0_4arch9wavefront6targetE0EEEvT1_
		.amdhsa_group_segment_fixed_size 0
		.amdhsa_private_segment_fixed_size 0
		.amdhsa_kernarg_size 32
		.amdhsa_user_sgpr_count 15
		.amdhsa_user_sgpr_dispatch_ptr 0
		.amdhsa_user_sgpr_queue_ptr 0
		.amdhsa_user_sgpr_kernarg_segment_ptr 1
		.amdhsa_user_sgpr_dispatch_id 0
		.amdhsa_user_sgpr_private_segment_size 0
		.amdhsa_wavefront_size32 1
		.amdhsa_uses_dynamic_stack 0
		.amdhsa_enable_private_segment 0
		.amdhsa_system_sgpr_workgroup_id_x 1
		.amdhsa_system_sgpr_workgroup_id_y 0
		.amdhsa_system_sgpr_workgroup_id_z 0
		.amdhsa_system_sgpr_workgroup_info 0
		.amdhsa_system_vgpr_workitem_id 0
		.amdhsa_next_free_vgpr 1
		.amdhsa_next_free_sgpr 1
		.amdhsa_reserve_vcc 0
		.amdhsa_float_round_mode_32 0
		.amdhsa_float_round_mode_16_64 0
		.amdhsa_float_denorm_mode_32 3
		.amdhsa_float_denorm_mode_16_64 3
		.amdhsa_dx10_clamp 1
		.amdhsa_ieee_mode 1
		.amdhsa_fp16_overflow 0
		.amdhsa_workgroup_processor_mode 1
		.amdhsa_memory_ordered 1
		.amdhsa_forward_progress 0
		.amdhsa_shared_vgpr_count 0
		.amdhsa_exception_fp_ieee_invalid_op 0
		.amdhsa_exception_fp_denorm_src 0
		.amdhsa_exception_fp_ieee_div_zero 0
		.amdhsa_exception_fp_ieee_overflow 0
		.amdhsa_exception_fp_ieee_underflow 0
		.amdhsa_exception_fp_ieee_inexact 0
		.amdhsa_exception_int_div_zero 0
	.end_amdhsa_kernel
	.section	.text._ZN7rocprim17ROCPRIM_400000_NS6detail17trampoline_kernelINS0_14default_configENS1_20scan_config_selectorIiEEZZNS1_9scan_implILNS1_25lookback_scan_determinismE0ELb0ELb0ES3_N6thrust23THRUST_200600_302600_NS6detail15normal_iteratorINS9_10device_ptrIiEEEESE_iNS9_4plusIvEEiEEDaPvRmT3_T4_T5_mT6_P12ihipStream_tbENKUlT_T0_E_clISt17integral_constantIbLb0EEST_IbLb1EEEEDaSP_SQ_EUlSP_E0_NS1_11comp_targetILNS1_3genE4ELNS1_11target_archE910ELNS1_3gpuE8ELNS1_3repE0EEENS1_30default_config_static_selectorELNS0_4arch9wavefront6targetE0EEEvT1_,"axG",@progbits,_ZN7rocprim17ROCPRIM_400000_NS6detail17trampoline_kernelINS0_14default_configENS1_20scan_config_selectorIiEEZZNS1_9scan_implILNS1_25lookback_scan_determinismE0ELb0ELb0ES3_N6thrust23THRUST_200600_302600_NS6detail15normal_iteratorINS9_10device_ptrIiEEEESE_iNS9_4plusIvEEiEEDaPvRmT3_T4_T5_mT6_P12ihipStream_tbENKUlT_T0_E_clISt17integral_constantIbLb0EEST_IbLb1EEEEDaSP_SQ_EUlSP_E0_NS1_11comp_targetILNS1_3genE4ELNS1_11target_archE910ELNS1_3gpuE8ELNS1_3repE0EEENS1_30default_config_static_selectorELNS0_4arch9wavefront6targetE0EEEvT1_,comdat
.Lfunc_end79:
	.size	_ZN7rocprim17ROCPRIM_400000_NS6detail17trampoline_kernelINS0_14default_configENS1_20scan_config_selectorIiEEZZNS1_9scan_implILNS1_25lookback_scan_determinismE0ELb0ELb0ES3_N6thrust23THRUST_200600_302600_NS6detail15normal_iteratorINS9_10device_ptrIiEEEESE_iNS9_4plusIvEEiEEDaPvRmT3_T4_T5_mT6_P12ihipStream_tbENKUlT_T0_E_clISt17integral_constantIbLb0EEST_IbLb1EEEEDaSP_SQ_EUlSP_E0_NS1_11comp_targetILNS1_3genE4ELNS1_11target_archE910ELNS1_3gpuE8ELNS1_3repE0EEENS1_30default_config_static_selectorELNS0_4arch9wavefront6targetE0EEEvT1_, .Lfunc_end79-_ZN7rocprim17ROCPRIM_400000_NS6detail17trampoline_kernelINS0_14default_configENS1_20scan_config_selectorIiEEZZNS1_9scan_implILNS1_25lookback_scan_determinismE0ELb0ELb0ES3_N6thrust23THRUST_200600_302600_NS6detail15normal_iteratorINS9_10device_ptrIiEEEESE_iNS9_4plusIvEEiEEDaPvRmT3_T4_T5_mT6_P12ihipStream_tbENKUlT_T0_E_clISt17integral_constantIbLb0EEST_IbLb1EEEEDaSP_SQ_EUlSP_E0_NS1_11comp_targetILNS1_3genE4ELNS1_11target_archE910ELNS1_3gpuE8ELNS1_3repE0EEENS1_30default_config_static_selectorELNS0_4arch9wavefront6targetE0EEEvT1_
                                        ; -- End function
	.section	.AMDGPU.csdata,"",@progbits
; Kernel info:
; codeLenInByte = 0
; NumSgprs: 0
; NumVgprs: 0
; ScratchSize: 0
; MemoryBound: 0
; FloatMode: 240
; IeeeMode: 1
; LDSByteSize: 0 bytes/workgroup (compile time only)
; SGPRBlocks: 0
; VGPRBlocks: 0
; NumSGPRsForWavesPerEU: 1
; NumVGPRsForWavesPerEU: 1
; Occupancy: 16
; WaveLimiterHint : 0
; COMPUTE_PGM_RSRC2:SCRATCH_EN: 0
; COMPUTE_PGM_RSRC2:USER_SGPR: 15
; COMPUTE_PGM_RSRC2:TRAP_HANDLER: 0
; COMPUTE_PGM_RSRC2:TGID_X_EN: 1
; COMPUTE_PGM_RSRC2:TGID_Y_EN: 0
; COMPUTE_PGM_RSRC2:TGID_Z_EN: 0
; COMPUTE_PGM_RSRC2:TIDIG_COMP_CNT: 0
	.section	.text._ZN7rocprim17ROCPRIM_400000_NS6detail17trampoline_kernelINS0_14default_configENS1_20scan_config_selectorIiEEZZNS1_9scan_implILNS1_25lookback_scan_determinismE0ELb0ELb0ES3_N6thrust23THRUST_200600_302600_NS6detail15normal_iteratorINS9_10device_ptrIiEEEESE_iNS9_4plusIvEEiEEDaPvRmT3_T4_T5_mT6_P12ihipStream_tbENKUlT_T0_E_clISt17integral_constantIbLb0EEST_IbLb1EEEEDaSP_SQ_EUlSP_E0_NS1_11comp_targetILNS1_3genE3ELNS1_11target_archE908ELNS1_3gpuE7ELNS1_3repE0EEENS1_30default_config_static_selectorELNS0_4arch9wavefront6targetE0EEEvT1_,"axG",@progbits,_ZN7rocprim17ROCPRIM_400000_NS6detail17trampoline_kernelINS0_14default_configENS1_20scan_config_selectorIiEEZZNS1_9scan_implILNS1_25lookback_scan_determinismE0ELb0ELb0ES3_N6thrust23THRUST_200600_302600_NS6detail15normal_iteratorINS9_10device_ptrIiEEEESE_iNS9_4plusIvEEiEEDaPvRmT3_T4_T5_mT6_P12ihipStream_tbENKUlT_T0_E_clISt17integral_constantIbLb0EEST_IbLb1EEEEDaSP_SQ_EUlSP_E0_NS1_11comp_targetILNS1_3genE3ELNS1_11target_archE908ELNS1_3gpuE7ELNS1_3repE0EEENS1_30default_config_static_selectorELNS0_4arch9wavefront6targetE0EEEvT1_,comdat
	.protected	_ZN7rocprim17ROCPRIM_400000_NS6detail17trampoline_kernelINS0_14default_configENS1_20scan_config_selectorIiEEZZNS1_9scan_implILNS1_25lookback_scan_determinismE0ELb0ELb0ES3_N6thrust23THRUST_200600_302600_NS6detail15normal_iteratorINS9_10device_ptrIiEEEESE_iNS9_4plusIvEEiEEDaPvRmT3_T4_T5_mT6_P12ihipStream_tbENKUlT_T0_E_clISt17integral_constantIbLb0EEST_IbLb1EEEEDaSP_SQ_EUlSP_E0_NS1_11comp_targetILNS1_3genE3ELNS1_11target_archE908ELNS1_3gpuE7ELNS1_3repE0EEENS1_30default_config_static_selectorELNS0_4arch9wavefront6targetE0EEEvT1_ ; -- Begin function _ZN7rocprim17ROCPRIM_400000_NS6detail17trampoline_kernelINS0_14default_configENS1_20scan_config_selectorIiEEZZNS1_9scan_implILNS1_25lookback_scan_determinismE0ELb0ELb0ES3_N6thrust23THRUST_200600_302600_NS6detail15normal_iteratorINS9_10device_ptrIiEEEESE_iNS9_4plusIvEEiEEDaPvRmT3_T4_T5_mT6_P12ihipStream_tbENKUlT_T0_E_clISt17integral_constantIbLb0EEST_IbLb1EEEEDaSP_SQ_EUlSP_E0_NS1_11comp_targetILNS1_3genE3ELNS1_11target_archE908ELNS1_3gpuE7ELNS1_3repE0EEENS1_30default_config_static_selectorELNS0_4arch9wavefront6targetE0EEEvT1_
	.globl	_ZN7rocprim17ROCPRIM_400000_NS6detail17trampoline_kernelINS0_14default_configENS1_20scan_config_selectorIiEEZZNS1_9scan_implILNS1_25lookback_scan_determinismE0ELb0ELb0ES3_N6thrust23THRUST_200600_302600_NS6detail15normal_iteratorINS9_10device_ptrIiEEEESE_iNS9_4plusIvEEiEEDaPvRmT3_T4_T5_mT6_P12ihipStream_tbENKUlT_T0_E_clISt17integral_constantIbLb0EEST_IbLb1EEEEDaSP_SQ_EUlSP_E0_NS1_11comp_targetILNS1_3genE3ELNS1_11target_archE908ELNS1_3gpuE7ELNS1_3repE0EEENS1_30default_config_static_selectorELNS0_4arch9wavefront6targetE0EEEvT1_
	.p2align	8
	.type	_ZN7rocprim17ROCPRIM_400000_NS6detail17trampoline_kernelINS0_14default_configENS1_20scan_config_selectorIiEEZZNS1_9scan_implILNS1_25lookback_scan_determinismE0ELb0ELb0ES3_N6thrust23THRUST_200600_302600_NS6detail15normal_iteratorINS9_10device_ptrIiEEEESE_iNS9_4plusIvEEiEEDaPvRmT3_T4_T5_mT6_P12ihipStream_tbENKUlT_T0_E_clISt17integral_constantIbLb0EEST_IbLb1EEEEDaSP_SQ_EUlSP_E0_NS1_11comp_targetILNS1_3genE3ELNS1_11target_archE908ELNS1_3gpuE7ELNS1_3repE0EEENS1_30default_config_static_selectorELNS0_4arch9wavefront6targetE0EEEvT1_,@function
_ZN7rocprim17ROCPRIM_400000_NS6detail17trampoline_kernelINS0_14default_configENS1_20scan_config_selectorIiEEZZNS1_9scan_implILNS1_25lookback_scan_determinismE0ELb0ELb0ES3_N6thrust23THRUST_200600_302600_NS6detail15normal_iteratorINS9_10device_ptrIiEEEESE_iNS9_4plusIvEEiEEDaPvRmT3_T4_T5_mT6_P12ihipStream_tbENKUlT_T0_E_clISt17integral_constantIbLb0EEST_IbLb1EEEEDaSP_SQ_EUlSP_E0_NS1_11comp_targetILNS1_3genE3ELNS1_11target_archE908ELNS1_3gpuE7ELNS1_3repE0EEENS1_30default_config_static_selectorELNS0_4arch9wavefront6targetE0EEEvT1_: ; @_ZN7rocprim17ROCPRIM_400000_NS6detail17trampoline_kernelINS0_14default_configENS1_20scan_config_selectorIiEEZZNS1_9scan_implILNS1_25lookback_scan_determinismE0ELb0ELb0ES3_N6thrust23THRUST_200600_302600_NS6detail15normal_iteratorINS9_10device_ptrIiEEEESE_iNS9_4plusIvEEiEEDaPvRmT3_T4_T5_mT6_P12ihipStream_tbENKUlT_T0_E_clISt17integral_constantIbLb0EEST_IbLb1EEEEDaSP_SQ_EUlSP_E0_NS1_11comp_targetILNS1_3genE3ELNS1_11target_archE908ELNS1_3gpuE7ELNS1_3repE0EEENS1_30default_config_static_selectorELNS0_4arch9wavefront6targetE0EEEvT1_
; %bb.0:
	.section	.rodata,"a",@progbits
	.p2align	6, 0x0
	.amdhsa_kernel _ZN7rocprim17ROCPRIM_400000_NS6detail17trampoline_kernelINS0_14default_configENS1_20scan_config_selectorIiEEZZNS1_9scan_implILNS1_25lookback_scan_determinismE0ELb0ELb0ES3_N6thrust23THRUST_200600_302600_NS6detail15normal_iteratorINS9_10device_ptrIiEEEESE_iNS9_4plusIvEEiEEDaPvRmT3_T4_T5_mT6_P12ihipStream_tbENKUlT_T0_E_clISt17integral_constantIbLb0EEST_IbLb1EEEEDaSP_SQ_EUlSP_E0_NS1_11comp_targetILNS1_3genE3ELNS1_11target_archE908ELNS1_3gpuE7ELNS1_3repE0EEENS1_30default_config_static_selectorELNS0_4arch9wavefront6targetE0EEEvT1_
		.amdhsa_group_segment_fixed_size 0
		.amdhsa_private_segment_fixed_size 0
		.amdhsa_kernarg_size 32
		.amdhsa_user_sgpr_count 15
		.amdhsa_user_sgpr_dispatch_ptr 0
		.amdhsa_user_sgpr_queue_ptr 0
		.amdhsa_user_sgpr_kernarg_segment_ptr 1
		.amdhsa_user_sgpr_dispatch_id 0
		.amdhsa_user_sgpr_private_segment_size 0
		.amdhsa_wavefront_size32 1
		.amdhsa_uses_dynamic_stack 0
		.amdhsa_enable_private_segment 0
		.amdhsa_system_sgpr_workgroup_id_x 1
		.amdhsa_system_sgpr_workgroup_id_y 0
		.amdhsa_system_sgpr_workgroup_id_z 0
		.amdhsa_system_sgpr_workgroup_info 0
		.amdhsa_system_vgpr_workitem_id 0
		.amdhsa_next_free_vgpr 1
		.amdhsa_next_free_sgpr 1
		.amdhsa_reserve_vcc 0
		.amdhsa_float_round_mode_32 0
		.amdhsa_float_round_mode_16_64 0
		.amdhsa_float_denorm_mode_32 3
		.amdhsa_float_denorm_mode_16_64 3
		.amdhsa_dx10_clamp 1
		.amdhsa_ieee_mode 1
		.amdhsa_fp16_overflow 0
		.amdhsa_workgroup_processor_mode 1
		.amdhsa_memory_ordered 1
		.amdhsa_forward_progress 0
		.amdhsa_shared_vgpr_count 0
		.amdhsa_exception_fp_ieee_invalid_op 0
		.amdhsa_exception_fp_denorm_src 0
		.amdhsa_exception_fp_ieee_div_zero 0
		.amdhsa_exception_fp_ieee_overflow 0
		.amdhsa_exception_fp_ieee_underflow 0
		.amdhsa_exception_fp_ieee_inexact 0
		.amdhsa_exception_int_div_zero 0
	.end_amdhsa_kernel
	.section	.text._ZN7rocprim17ROCPRIM_400000_NS6detail17trampoline_kernelINS0_14default_configENS1_20scan_config_selectorIiEEZZNS1_9scan_implILNS1_25lookback_scan_determinismE0ELb0ELb0ES3_N6thrust23THRUST_200600_302600_NS6detail15normal_iteratorINS9_10device_ptrIiEEEESE_iNS9_4plusIvEEiEEDaPvRmT3_T4_T5_mT6_P12ihipStream_tbENKUlT_T0_E_clISt17integral_constantIbLb0EEST_IbLb1EEEEDaSP_SQ_EUlSP_E0_NS1_11comp_targetILNS1_3genE3ELNS1_11target_archE908ELNS1_3gpuE7ELNS1_3repE0EEENS1_30default_config_static_selectorELNS0_4arch9wavefront6targetE0EEEvT1_,"axG",@progbits,_ZN7rocprim17ROCPRIM_400000_NS6detail17trampoline_kernelINS0_14default_configENS1_20scan_config_selectorIiEEZZNS1_9scan_implILNS1_25lookback_scan_determinismE0ELb0ELb0ES3_N6thrust23THRUST_200600_302600_NS6detail15normal_iteratorINS9_10device_ptrIiEEEESE_iNS9_4plusIvEEiEEDaPvRmT3_T4_T5_mT6_P12ihipStream_tbENKUlT_T0_E_clISt17integral_constantIbLb0EEST_IbLb1EEEEDaSP_SQ_EUlSP_E0_NS1_11comp_targetILNS1_3genE3ELNS1_11target_archE908ELNS1_3gpuE7ELNS1_3repE0EEENS1_30default_config_static_selectorELNS0_4arch9wavefront6targetE0EEEvT1_,comdat
.Lfunc_end80:
	.size	_ZN7rocprim17ROCPRIM_400000_NS6detail17trampoline_kernelINS0_14default_configENS1_20scan_config_selectorIiEEZZNS1_9scan_implILNS1_25lookback_scan_determinismE0ELb0ELb0ES3_N6thrust23THRUST_200600_302600_NS6detail15normal_iteratorINS9_10device_ptrIiEEEESE_iNS9_4plusIvEEiEEDaPvRmT3_T4_T5_mT6_P12ihipStream_tbENKUlT_T0_E_clISt17integral_constantIbLb0EEST_IbLb1EEEEDaSP_SQ_EUlSP_E0_NS1_11comp_targetILNS1_3genE3ELNS1_11target_archE908ELNS1_3gpuE7ELNS1_3repE0EEENS1_30default_config_static_selectorELNS0_4arch9wavefront6targetE0EEEvT1_, .Lfunc_end80-_ZN7rocprim17ROCPRIM_400000_NS6detail17trampoline_kernelINS0_14default_configENS1_20scan_config_selectorIiEEZZNS1_9scan_implILNS1_25lookback_scan_determinismE0ELb0ELb0ES3_N6thrust23THRUST_200600_302600_NS6detail15normal_iteratorINS9_10device_ptrIiEEEESE_iNS9_4plusIvEEiEEDaPvRmT3_T4_T5_mT6_P12ihipStream_tbENKUlT_T0_E_clISt17integral_constantIbLb0EEST_IbLb1EEEEDaSP_SQ_EUlSP_E0_NS1_11comp_targetILNS1_3genE3ELNS1_11target_archE908ELNS1_3gpuE7ELNS1_3repE0EEENS1_30default_config_static_selectorELNS0_4arch9wavefront6targetE0EEEvT1_
                                        ; -- End function
	.section	.AMDGPU.csdata,"",@progbits
; Kernel info:
; codeLenInByte = 0
; NumSgprs: 0
; NumVgprs: 0
; ScratchSize: 0
; MemoryBound: 0
; FloatMode: 240
; IeeeMode: 1
; LDSByteSize: 0 bytes/workgroup (compile time only)
; SGPRBlocks: 0
; VGPRBlocks: 0
; NumSGPRsForWavesPerEU: 1
; NumVGPRsForWavesPerEU: 1
; Occupancy: 16
; WaveLimiterHint : 0
; COMPUTE_PGM_RSRC2:SCRATCH_EN: 0
; COMPUTE_PGM_RSRC2:USER_SGPR: 15
; COMPUTE_PGM_RSRC2:TRAP_HANDLER: 0
; COMPUTE_PGM_RSRC2:TGID_X_EN: 1
; COMPUTE_PGM_RSRC2:TGID_Y_EN: 0
; COMPUTE_PGM_RSRC2:TGID_Z_EN: 0
; COMPUTE_PGM_RSRC2:TIDIG_COMP_CNT: 0
	.section	.text._ZN7rocprim17ROCPRIM_400000_NS6detail17trampoline_kernelINS0_14default_configENS1_20scan_config_selectorIiEEZZNS1_9scan_implILNS1_25lookback_scan_determinismE0ELb0ELb0ES3_N6thrust23THRUST_200600_302600_NS6detail15normal_iteratorINS9_10device_ptrIiEEEESE_iNS9_4plusIvEEiEEDaPvRmT3_T4_T5_mT6_P12ihipStream_tbENKUlT_T0_E_clISt17integral_constantIbLb0EEST_IbLb1EEEEDaSP_SQ_EUlSP_E0_NS1_11comp_targetILNS1_3genE2ELNS1_11target_archE906ELNS1_3gpuE6ELNS1_3repE0EEENS1_30default_config_static_selectorELNS0_4arch9wavefront6targetE0EEEvT1_,"axG",@progbits,_ZN7rocprim17ROCPRIM_400000_NS6detail17trampoline_kernelINS0_14default_configENS1_20scan_config_selectorIiEEZZNS1_9scan_implILNS1_25lookback_scan_determinismE0ELb0ELb0ES3_N6thrust23THRUST_200600_302600_NS6detail15normal_iteratorINS9_10device_ptrIiEEEESE_iNS9_4plusIvEEiEEDaPvRmT3_T4_T5_mT6_P12ihipStream_tbENKUlT_T0_E_clISt17integral_constantIbLb0EEST_IbLb1EEEEDaSP_SQ_EUlSP_E0_NS1_11comp_targetILNS1_3genE2ELNS1_11target_archE906ELNS1_3gpuE6ELNS1_3repE0EEENS1_30default_config_static_selectorELNS0_4arch9wavefront6targetE0EEEvT1_,comdat
	.protected	_ZN7rocprim17ROCPRIM_400000_NS6detail17trampoline_kernelINS0_14default_configENS1_20scan_config_selectorIiEEZZNS1_9scan_implILNS1_25lookback_scan_determinismE0ELb0ELb0ES3_N6thrust23THRUST_200600_302600_NS6detail15normal_iteratorINS9_10device_ptrIiEEEESE_iNS9_4plusIvEEiEEDaPvRmT3_T4_T5_mT6_P12ihipStream_tbENKUlT_T0_E_clISt17integral_constantIbLb0EEST_IbLb1EEEEDaSP_SQ_EUlSP_E0_NS1_11comp_targetILNS1_3genE2ELNS1_11target_archE906ELNS1_3gpuE6ELNS1_3repE0EEENS1_30default_config_static_selectorELNS0_4arch9wavefront6targetE0EEEvT1_ ; -- Begin function _ZN7rocprim17ROCPRIM_400000_NS6detail17trampoline_kernelINS0_14default_configENS1_20scan_config_selectorIiEEZZNS1_9scan_implILNS1_25lookback_scan_determinismE0ELb0ELb0ES3_N6thrust23THRUST_200600_302600_NS6detail15normal_iteratorINS9_10device_ptrIiEEEESE_iNS9_4plusIvEEiEEDaPvRmT3_T4_T5_mT6_P12ihipStream_tbENKUlT_T0_E_clISt17integral_constantIbLb0EEST_IbLb1EEEEDaSP_SQ_EUlSP_E0_NS1_11comp_targetILNS1_3genE2ELNS1_11target_archE906ELNS1_3gpuE6ELNS1_3repE0EEENS1_30default_config_static_selectorELNS0_4arch9wavefront6targetE0EEEvT1_
	.globl	_ZN7rocprim17ROCPRIM_400000_NS6detail17trampoline_kernelINS0_14default_configENS1_20scan_config_selectorIiEEZZNS1_9scan_implILNS1_25lookback_scan_determinismE0ELb0ELb0ES3_N6thrust23THRUST_200600_302600_NS6detail15normal_iteratorINS9_10device_ptrIiEEEESE_iNS9_4plusIvEEiEEDaPvRmT3_T4_T5_mT6_P12ihipStream_tbENKUlT_T0_E_clISt17integral_constantIbLb0EEST_IbLb1EEEEDaSP_SQ_EUlSP_E0_NS1_11comp_targetILNS1_3genE2ELNS1_11target_archE906ELNS1_3gpuE6ELNS1_3repE0EEENS1_30default_config_static_selectorELNS0_4arch9wavefront6targetE0EEEvT1_
	.p2align	8
	.type	_ZN7rocprim17ROCPRIM_400000_NS6detail17trampoline_kernelINS0_14default_configENS1_20scan_config_selectorIiEEZZNS1_9scan_implILNS1_25lookback_scan_determinismE0ELb0ELb0ES3_N6thrust23THRUST_200600_302600_NS6detail15normal_iteratorINS9_10device_ptrIiEEEESE_iNS9_4plusIvEEiEEDaPvRmT3_T4_T5_mT6_P12ihipStream_tbENKUlT_T0_E_clISt17integral_constantIbLb0EEST_IbLb1EEEEDaSP_SQ_EUlSP_E0_NS1_11comp_targetILNS1_3genE2ELNS1_11target_archE906ELNS1_3gpuE6ELNS1_3repE0EEENS1_30default_config_static_selectorELNS0_4arch9wavefront6targetE0EEEvT1_,@function
_ZN7rocprim17ROCPRIM_400000_NS6detail17trampoline_kernelINS0_14default_configENS1_20scan_config_selectorIiEEZZNS1_9scan_implILNS1_25lookback_scan_determinismE0ELb0ELb0ES3_N6thrust23THRUST_200600_302600_NS6detail15normal_iteratorINS9_10device_ptrIiEEEESE_iNS9_4plusIvEEiEEDaPvRmT3_T4_T5_mT6_P12ihipStream_tbENKUlT_T0_E_clISt17integral_constantIbLb0EEST_IbLb1EEEEDaSP_SQ_EUlSP_E0_NS1_11comp_targetILNS1_3genE2ELNS1_11target_archE906ELNS1_3gpuE6ELNS1_3repE0EEENS1_30default_config_static_selectorELNS0_4arch9wavefront6targetE0EEEvT1_: ; @_ZN7rocprim17ROCPRIM_400000_NS6detail17trampoline_kernelINS0_14default_configENS1_20scan_config_selectorIiEEZZNS1_9scan_implILNS1_25lookback_scan_determinismE0ELb0ELb0ES3_N6thrust23THRUST_200600_302600_NS6detail15normal_iteratorINS9_10device_ptrIiEEEESE_iNS9_4plusIvEEiEEDaPvRmT3_T4_T5_mT6_P12ihipStream_tbENKUlT_T0_E_clISt17integral_constantIbLb0EEST_IbLb1EEEEDaSP_SQ_EUlSP_E0_NS1_11comp_targetILNS1_3genE2ELNS1_11target_archE906ELNS1_3gpuE6ELNS1_3repE0EEENS1_30default_config_static_selectorELNS0_4arch9wavefront6targetE0EEEvT1_
; %bb.0:
	.section	.rodata,"a",@progbits
	.p2align	6, 0x0
	.amdhsa_kernel _ZN7rocprim17ROCPRIM_400000_NS6detail17trampoline_kernelINS0_14default_configENS1_20scan_config_selectorIiEEZZNS1_9scan_implILNS1_25lookback_scan_determinismE0ELb0ELb0ES3_N6thrust23THRUST_200600_302600_NS6detail15normal_iteratorINS9_10device_ptrIiEEEESE_iNS9_4plusIvEEiEEDaPvRmT3_T4_T5_mT6_P12ihipStream_tbENKUlT_T0_E_clISt17integral_constantIbLb0EEST_IbLb1EEEEDaSP_SQ_EUlSP_E0_NS1_11comp_targetILNS1_3genE2ELNS1_11target_archE906ELNS1_3gpuE6ELNS1_3repE0EEENS1_30default_config_static_selectorELNS0_4arch9wavefront6targetE0EEEvT1_
		.amdhsa_group_segment_fixed_size 0
		.amdhsa_private_segment_fixed_size 0
		.amdhsa_kernarg_size 32
		.amdhsa_user_sgpr_count 15
		.amdhsa_user_sgpr_dispatch_ptr 0
		.amdhsa_user_sgpr_queue_ptr 0
		.amdhsa_user_sgpr_kernarg_segment_ptr 1
		.amdhsa_user_sgpr_dispatch_id 0
		.amdhsa_user_sgpr_private_segment_size 0
		.amdhsa_wavefront_size32 1
		.amdhsa_uses_dynamic_stack 0
		.amdhsa_enable_private_segment 0
		.amdhsa_system_sgpr_workgroup_id_x 1
		.amdhsa_system_sgpr_workgroup_id_y 0
		.amdhsa_system_sgpr_workgroup_id_z 0
		.amdhsa_system_sgpr_workgroup_info 0
		.amdhsa_system_vgpr_workitem_id 0
		.amdhsa_next_free_vgpr 1
		.amdhsa_next_free_sgpr 1
		.amdhsa_reserve_vcc 0
		.amdhsa_float_round_mode_32 0
		.amdhsa_float_round_mode_16_64 0
		.amdhsa_float_denorm_mode_32 3
		.amdhsa_float_denorm_mode_16_64 3
		.amdhsa_dx10_clamp 1
		.amdhsa_ieee_mode 1
		.amdhsa_fp16_overflow 0
		.amdhsa_workgroup_processor_mode 1
		.amdhsa_memory_ordered 1
		.amdhsa_forward_progress 0
		.amdhsa_shared_vgpr_count 0
		.amdhsa_exception_fp_ieee_invalid_op 0
		.amdhsa_exception_fp_denorm_src 0
		.amdhsa_exception_fp_ieee_div_zero 0
		.amdhsa_exception_fp_ieee_overflow 0
		.amdhsa_exception_fp_ieee_underflow 0
		.amdhsa_exception_fp_ieee_inexact 0
		.amdhsa_exception_int_div_zero 0
	.end_amdhsa_kernel
	.section	.text._ZN7rocprim17ROCPRIM_400000_NS6detail17trampoline_kernelINS0_14default_configENS1_20scan_config_selectorIiEEZZNS1_9scan_implILNS1_25lookback_scan_determinismE0ELb0ELb0ES3_N6thrust23THRUST_200600_302600_NS6detail15normal_iteratorINS9_10device_ptrIiEEEESE_iNS9_4plusIvEEiEEDaPvRmT3_T4_T5_mT6_P12ihipStream_tbENKUlT_T0_E_clISt17integral_constantIbLb0EEST_IbLb1EEEEDaSP_SQ_EUlSP_E0_NS1_11comp_targetILNS1_3genE2ELNS1_11target_archE906ELNS1_3gpuE6ELNS1_3repE0EEENS1_30default_config_static_selectorELNS0_4arch9wavefront6targetE0EEEvT1_,"axG",@progbits,_ZN7rocprim17ROCPRIM_400000_NS6detail17trampoline_kernelINS0_14default_configENS1_20scan_config_selectorIiEEZZNS1_9scan_implILNS1_25lookback_scan_determinismE0ELb0ELb0ES3_N6thrust23THRUST_200600_302600_NS6detail15normal_iteratorINS9_10device_ptrIiEEEESE_iNS9_4plusIvEEiEEDaPvRmT3_T4_T5_mT6_P12ihipStream_tbENKUlT_T0_E_clISt17integral_constantIbLb0EEST_IbLb1EEEEDaSP_SQ_EUlSP_E0_NS1_11comp_targetILNS1_3genE2ELNS1_11target_archE906ELNS1_3gpuE6ELNS1_3repE0EEENS1_30default_config_static_selectorELNS0_4arch9wavefront6targetE0EEEvT1_,comdat
.Lfunc_end81:
	.size	_ZN7rocprim17ROCPRIM_400000_NS6detail17trampoline_kernelINS0_14default_configENS1_20scan_config_selectorIiEEZZNS1_9scan_implILNS1_25lookback_scan_determinismE0ELb0ELb0ES3_N6thrust23THRUST_200600_302600_NS6detail15normal_iteratorINS9_10device_ptrIiEEEESE_iNS9_4plusIvEEiEEDaPvRmT3_T4_T5_mT6_P12ihipStream_tbENKUlT_T0_E_clISt17integral_constantIbLb0EEST_IbLb1EEEEDaSP_SQ_EUlSP_E0_NS1_11comp_targetILNS1_3genE2ELNS1_11target_archE906ELNS1_3gpuE6ELNS1_3repE0EEENS1_30default_config_static_selectorELNS0_4arch9wavefront6targetE0EEEvT1_, .Lfunc_end81-_ZN7rocprim17ROCPRIM_400000_NS6detail17trampoline_kernelINS0_14default_configENS1_20scan_config_selectorIiEEZZNS1_9scan_implILNS1_25lookback_scan_determinismE0ELb0ELb0ES3_N6thrust23THRUST_200600_302600_NS6detail15normal_iteratorINS9_10device_ptrIiEEEESE_iNS9_4plusIvEEiEEDaPvRmT3_T4_T5_mT6_P12ihipStream_tbENKUlT_T0_E_clISt17integral_constantIbLb0EEST_IbLb1EEEEDaSP_SQ_EUlSP_E0_NS1_11comp_targetILNS1_3genE2ELNS1_11target_archE906ELNS1_3gpuE6ELNS1_3repE0EEENS1_30default_config_static_selectorELNS0_4arch9wavefront6targetE0EEEvT1_
                                        ; -- End function
	.section	.AMDGPU.csdata,"",@progbits
; Kernel info:
; codeLenInByte = 0
; NumSgprs: 0
; NumVgprs: 0
; ScratchSize: 0
; MemoryBound: 0
; FloatMode: 240
; IeeeMode: 1
; LDSByteSize: 0 bytes/workgroup (compile time only)
; SGPRBlocks: 0
; VGPRBlocks: 0
; NumSGPRsForWavesPerEU: 1
; NumVGPRsForWavesPerEU: 1
; Occupancy: 16
; WaveLimiterHint : 0
; COMPUTE_PGM_RSRC2:SCRATCH_EN: 0
; COMPUTE_PGM_RSRC2:USER_SGPR: 15
; COMPUTE_PGM_RSRC2:TRAP_HANDLER: 0
; COMPUTE_PGM_RSRC2:TGID_X_EN: 1
; COMPUTE_PGM_RSRC2:TGID_Y_EN: 0
; COMPUTE_PGM_RSRC2:TGID_Z_EN: 0
; COMPUTE_PGM_RSRC2:TIDIG_COMP_CNT: 0
	.section	.text._ZN7rocprim17ROCPRIM_400000_NS6detail17trampoline_kernelINS0_14default_configENS1_20scan_config_selectorIiEEZZNS1_9scan_implILNS1_25lookback_scan_determinismE0ELb0ELb0ES3_N6thrust23THRUST_200600_302600_NS6detail15normal_iteratorINS9_10device_ptrIiEEEESE_iNS9_4plusIvEEiEEDaPvRmT3_T4_T5_mT6_P12ihipStream_tbENKUlT_T0_E_clISt17integral_constantIbLb0EEST_IbLb1EEEEDaSP_SQ_EUlSP_E0_NS1_11comp_targetILNS1_3genE10ELNS1_11target_archE1201ELNS1_3gpuE5ELNS1_3repE0EEENS1_30default_config_static_selectorELNS0_4arch9wavefront6targetE0EEEvT1_,"axG",@progbits,_ZN7rocprim17ROCPRIM_400000_NS6detail17trampoline_kernelINS0_14default_configENS1_20scan_config_selectorIiEEZZNS1_9scan_implILNS1_25lookback_scan_determinismE0ELb0ELb0ES3_N6thrust23THRUST_200600_302600_NS6detail15normal_iteratorINS9_10device_ptrIiEEEESE_iNS9_4plusIvEEiEEDaPvRmT3_T4_T5_mT6_P12ihipStream_tbENKUlT_T0_E_clISt17integral_constantIbLb0EEST_IbLb1EEEEDaSP_SQ_EUlSP_E0_NS1_11comp_targetILNS1_3genE10ELNS1_11target_archE1201ELNS1_3gpuE5ELNS1_3repE0EEENS1_30default_config_static_selectorELNS0_4arch9wavefront6targetE0EEEvT1_,comdat
	.protected	_ZN7rocprim17ROCPRIM_400000_NS6detail17trampoline_kernelINS0_14default_configENS1_20scan_config_selectorIiEEZZNS1_9scan_implILNS1_25lookback_scan_determinismE0ELb0ELb0ES3_N6thrust23THRUST_200600_302600_NS6detail15normal_iteratorINS9_10device_ptrIiEEEESE_iNS9_4plusIvEEiEEDaPvRmT3_T4_T5_mT6_P12ihipStream_tbENKUlT_T0_E_clISt17integral_constantIbLb0EEST_IbLb1EEEEDaSP_SQ_EUlSP_E0_NS1_11comp_targetILNS1_3genE10ELNS1_11target_archE1201ELNS1_3gpuE5ELNS1_3repE0EEENS1_30default_config_static_selectorELNS0_4arch9wavefront6targetE0EEEvT1_ ; -- Begin function _ZN7rocprim17ROCPRIM_400000_NS6detail17trampoline_kernelINS0_14default_configENS1_20scan_config_selectorIiEEZZNS1_9scan_implILNS1_25lookback_scan_determinismE0ELb0ELb0ES3_N6thrust23THRUST_200600_302600_NS6detail15normal_iteratorINS9_10device_ptrIiEEEESE_iNS9_4plusIvEEiEEDaPvRmT3_T4_T5_mT6_P12ihipStream_tbENKUlT_T0_E_clISt17integral_constantIbLb0EEST_IbLb1EEEEDaSP_SQ_EUlSP_E0_NS1_11comp_targetILNS1_3genE10ELNS1_11target_archE1201ELNS1_3gpuE5ELNS1_3repE0EEENS1_30default_config_static_selectorELNS0_4arch9wavefront6targetE0EEEvT1_
	.globl	_ZN7rocprim17ROCPRIM_400000_NS6detail17trampoline_kernelINS0_14default_configENS1_20scan_config_selectorIiEEZZNS1_9scan_implILNS1_25lookback_scan_determinismE0ELb0ELb0ES3_N6thrust23THRUST_200600_302600_NS6detail15normal_iteratorINS9_10device_ptrIiEEEESE_iNS9_4plusIvEEiEEDaPvRmT3_T4_T5_mT6_P12ihipStream_tbENKUlT_T0_E_clISt17integral_constantIbLb0EEST_IbLb1EEEEDaSP_SQ_EUlSP_E0_NS1_11comp_targetILNS1_3genE10ELNS1_11target_archE1201ELNS1_3gpuE5ELNS1_3repE0EEENS1_30default_config_static_selectorELNS0_4arch9wavefront6targetE0EEEvT1_
	.p2align	8
	.type	_ZN7rocprim17ROCPRIM_400000_NS6detail17trampoline_kernelINS0_14default_configENS1_20scan_config_selectorIiEEZZNS1_9scan_implILNS1_25lookback_scan_determinismE0ELb0ELb0ES3_N6thrust23THRUST_200600_302600_NS6detail15normal_iteratorINS9_10device_ptrIiEEEESE_iNS9_4plusIvEEiEEDaPvRmT3_T4_T5_mT6_P12ihipStream_tbENKUlT_T0_E_clISt17integral_constantIbLb0EEST_IbLb1EEEEDaSP_SQ_EUlSP_E0_NS1_11comp_targetILNS1_3genE10ELNS1_11target_archE1201ELNS1_3gpuE5ELNS1_3repE0EEENS1_30default_config_static_selectorELNS0_4arch9wavefront6targetE0EEEvT1_,@function
_ZN7rocprim17ROCPRIM_400000_NS6detail17trampoline_kernelINS0_14default_configENS1_20scan_config_selectorIiEEZZNS1_9scan_implILNS1_25lookback_scan_determinismE0ELb0ELb0ES3_N6thrust23THRUST_200600_302600_NS6detail15normal_iteratorINS9_10device_ptrIiEEEESE_iNS9_4plusIvEEiEEDaPvRmT3_T4_T5_mT6_P12ihipStream_tbENKUlT_T0_E_clISt17integral_constantIbLb0EEST_IbLb1EEEEDaSP_SQ_EUlSP_E0_NS1_11comp_targetILNS1_3genE10ELNS1_11target_archE1201ELNS1_3gpuE5ELNS1_3repE0EEENS1_30default_config_static_selectorELNS0_4arch9wavefront6targetE0EEEvT1_: ; @_ZN7rocprim17ROCPRIM_400000_NS6detail17trampoline_kernelINS0_14default_configENS1_20scan_config_selectorIiEEZZNS1_9scan_implILNS1_25lookback_scan_determinismE0ELb0ELb0ES3_N6thrust23THRUST_200600_302600_NS6detail15normal_iteratorINS9_10device_ptrIiEEEESE_iNS9_4plusIvEEiEEDaPvRmT3_T4_T5_mT6_P12ihipStream_tbENKUlT_T0_E_clISt17integral_constantIbLb0EEST_IbLb1EEEEDaSP_SQ_EUlSP_E0_NS1_11comp_targetILNS1_3genE10ELNS1_11target_archE1201ELNS1_3gpuE5ELNS1_3repE0EEENS1_30default_config_static_selectorELNS0_4arch9wavefront6targetE0EEEvT1_
; %bb.0:
	.section	.rodata,"a",@progbits
	.p2align	6, 0x0
	.amdhsa_kernel _ZN7rocprim17ROCPRIM_400000_NS6detail17trampoline_kernelINS0_14default_configENS1_20scan_config_selectorIiEEZZNS1_9scan_implILNS1_25lookback_scan_determinismE0ELb0ELb0ES3_N6thrust23THRUST_200600_302600_NS6detail15normal_iteratorINS9_10device_ptrIiEEEESE_iNS9_4plusIvEEiEEDaPvRmT3_T4_T5_mT6_P12ihipStream_tbENKUlT_T0_E_clISt17integral_constantIbLb0EEST_IbLb1EEEEDaSP_SQ_EUlSP_E0_NS1_11comp_targetILNS1_3genE10ELNS1_11target_archE1201ELNS1_3gpuE5ELNS1_3repE0EEENS1_30default_config_static_selectorELNS0_4arch9wavefront6targetE0EEEvT1_
		.amdhsa_group_segment_fixed_size 0
		.amdhsa_private_segment_fixed_size 0
		.amdhsa_kernarg_size 32
		.amdhsa_user_sgpr_count 15
		.amdhsa_user_sgpr_dispatch_ptr 0
		.amdhsa_user_sgpr_queue_ptr 0
		.amdhsa_user_sgpr_kernarg_segment_ptr 1
		.amdhsa_user_sgpr_dispatch_id 0
		.amdhsa_user_sgpr_private_segment_size 0
		.amdhsa_wavefront_size32 1
		.amdhsa_uses_dynamic_stack 0
		.amdhsa_enable_private_segment 0
		.amdhsa_system_sgpr_workgroup_id_x 1
		.amdhsa_system_sgpr_workgroup_id_y 0
		.amdhsa_system_sgpr_workgroup_id_z 0
		.amdhsa_system_sgpr_workgroup_info 0
		.amdhsa_system_vgpr_workitem_id 0
		.amdhsa_next_free_vgpr 1
		.amdhsa_next_free_sgpr 1
		.amdhsa_reserve_vcc 0
		.amdhsa_float_round_mode_32 0
		.amdhsa_float_round_mode_16_64 0
		.amdhsa_float_denorm_mode_32 3
		.amdhsa_float_denorm_mode_16_64 3
		.amdhsa_dx10_clamp 1
		.amdhsa_ieee_mode 1
		.amdhsa_fp16_overflow 0
		.amdhsa_workgroup_processor_mode 1
		.amdhsa_memory_ordered 1
		.amdhsa_forward_progress 0
		.amdhsa_shared_vgpr_count 0
		.amdhsa_exception_fp_ieee_invalid_op 0
		.amdhsa_exception_fp_denorm_src 0
		.amdhsa_exception_fp_ieee_div_zero 0
		.amdhsa_exception_fp_ieee_overflow 0
		.amdhsa_exception_fp_ieee_underflow 0
		.amdhsa_exception_fp_ieee_inexact 0
		.amdhsa_exception_int_div_zero 0
	.end_amdhsa_kernel
	.section	.text._ZN7rocprim17ROCPRIM_400000_NS6detail17trampoline_kernelINS0_14default_configENS1_20scan_config_selectorIiEEZZNS1_9scan_implILNS1_25lookback_scan_determinismE0ELb0ELb0ES3_N6thrust23THRUST_200600_302600_NS6detail15normal_iteratorINS9_10device_ptrIiEEEESE_iNS9_4plusIvEEiEEDaPvRmT3_T4_T5_mT6_P12ihipStream_tbENKUlT_T0_E_clISt17integral_constantIbLb0EEST_IbLb1EEEEDaSP_SQ_EUlSP_E0_NS1_11comp_targetILNS1_3genE10ELNS1_11target_archE1201ELNS1_3gpuE5ELNS1_3repE0EEENS1_30default_config_static_selectorELNS0_4arch9wavefront6targetE0EEEvT1_,"axG",@progbits,_ZN7rocprim17ROCPRIM_400000_NS6detail17trampoline_kernelINS0_14default_configENS1_20scan_config_selectorIiEEZZNS1_9scan_implILNS1_25lookback_scan_determinismE0ELb0ELb0ES3_N6thrust23THRUST_200600_302600_NS6detail15normal_iteratorINS9_10device_ptrIiEEEESE_iNS9_4plusIvEEiEEDaPvRmT3_T4_T5_mT6_P12ihipStream_tbENKUlT_T0_E_clISt17integral_constantIbLb0EEST_IbLb1EEEEDaSP_SQ_EUlSP_E0_NS1_11comp_targetILNS1_3genE10ELNS1_11target_archE1201ELNS1_3gpuE5ELNS1_3repE0EEENS1_30default_config_static_selectorELNS0_4arch9wavefront6targetE0EEEvT1_,comdat
.Lfunc_end82:
	.size	_ZN7rocprim17ROCPRIM_400000_NS6detail17trampoline_kernelINS0_14default_configENS1_20scan_config_selectorIiEEZZNS1_9scan_implILNS1_25lookback_scan_determinismE0ELb0ELb0ES3_N6thrust23THRUST_200600_302600_NS6detail15normal_iteratorINS9_10device_ptrIiEEEESE_iNS9_4plusIvEEiEEDaPvRmT3_T4_T5_mT6_P12ihipStream_tbENKUlT_T0_E_clISt17integral_constantIbLb0EEST_IbLb1EEEEDaSP_SQ_EUlSP_E0_NS1_11comp_targetILNS1_3genE10ELNS1_11target_archE1201ELNS1_3gpuE5ELNS1_3repE0EEENS1_30default_config_static_selectorELNS0_4arch9wavefront6targetE0EEEvT1_, .Lfunc_end82-_ZN7rocprim17ROCPRIM_400000_NS6detail17trampoline_kernelINS0_14default_configENS1_20scan_config_selectorIiEEZZNS1_9scan_implILNS1_25lookback_scan_determinismE0ELb0ELb0ES3_N6thrust23THRUST_200600_302600_NS6detail15normal_iteratorINS9_10device_ptrIiEEEESE_iNS9_4plusIvEEiEEDaPvRmT3_T4_T5_mT6_P12ihipStream_tbENKUlT_T0_E_clISt17integral_constantIbLb0EEST_IbLb1EEEEDaSP_SQ_EUlSP_E0_NS1_11comp_targetILNS1_3genE10ELNS1_11target_archE1201ELNS1_3gpuE5ELNS1_3repE0EEENS1_30default_config_static_selectorELNS0_4arch9wavefront6targetE0EEEvT1_
                                        ; -- End function
	.section	.AMDGPU.csdata,"",@progbits
; Kernel info:
; codeLenInByte = 0
; NumSgprs: 0
; NumVgprs: 0
; ScratchSize: 0
; MemoryBound: 0
; FloatMode: 240
; IeeeMode: 1
; LDSByteSize: 0 bytes/workgroup (compile time only)
; SGPRBlocks: 0
; VGPRBlocks: 0
; NumSGPRsForWavesPerEU: 1
; NumVGPRsForWavesPerEU: 1
; Occupancy: 16
; WaveLimiterHint : 0
; COMPUTE_PGM_RSRC2:SCRATCH_EN: 0
; COMPUTE_PGM_RSRC2:USER_SGPR: 15
; COMPUTE_PGM_RSRC2:TRAP_HANDLER: 0
; COMPUTE_PGM_RSRC2:TGID_X_EN: 1
; COMPUTE_PGM_RSRC2:TGID_Y_EN: 0
; COMPUTE_PGM_RSRC2:TGID_Z_EN: 0
; COMPUTE_PGM_RSRC2:TIDIG_COMP_CNT: 0
	.section	.text._ZN7rocprim17ROCPRIM_400000_NS6detail17trampoline_kernelINS0_14default_configENS1_20scan_config_selectorIiEEZZNS1_9scan_implILNS1_25lookback_scan_determinismE0ELb0ELb0ES3_N6thrust23THRUST_200600_302600_NS6detail15normal_iteratorINS9_10device_ptrIiEEEESE_iNS9_4plusIvEEiEEDaPvRmT3_T4_T5_mT6_P12ihipStream_tbENKUlT_T0_E_clISt17integral_constantIbLb0EEST_IbLb1EEEEDaSP_SQ_EUlSP_E0_NS1_11comp_targetILNS1_3genE10ELNS1_11target_archE1200ELNS1_3gpuE4ELNS1_3repE0EEENS1_30default_config_static_selectorELNS0_4arch9wavefront6targetE0EEEvT1_,"axG",@progbits,_ZN7rocprim17ROCPRIM_400000_NS6detail17trampoline_kernelINS0_14default_configENS1_20scan_config_selectorIiEEZZNS1_9scan_implILNS1_25lookback_scan_determinismE0ELb0ELb0ES3_N6thrust23THRUST_200600_302600_NS6detail15normal_iteratorINS9_10device_ptrIiEEEESE_iNS9_4plusIvEEiEEDaPvRmT3_T4_T5_mT6_P12ihipStream_tbENKUlT_T0_E_clISt17integral_constantIbLb0EEST_IbLb1EEEEDaSP_SQ_EUlSP_E0_NS1_11comp_targetILNS1_3genE10ELNS1_11target_archE1200ELNS1_3gpuE4ELNS1_3repE0EEENS1_30default_config_static_selectorELNS0_4arch9wavefront6targetE0EEEvT1_,comdat
	.protected	_ZN7rocprim17ROCPRIM_400000_NS6detail17trampoline_kernelINS0_14default_configENS1_20scan_config_selectorIiEEZZNS1_9scan_implILNS1_25lookback_scan_determinismE0ELb0ELb0ES3_N6thrust23THRUST_200600_302600_NS6detail15normal_iteratorINS9_10device_ptrIiEEEESE_iNS9_4plusIvEEiEEDaPvRmT3_T4_T5_mT6_P12ihipStream_tbENKUlT_T0_E_clISt17integral_constantIbLb0EEST_IbLb1EEEEDaSP_SQ_EUlSP_E0_NS1_11comp_targetILNS1_3genE10ELNS1_11target_archE1200ELNS1_3gpuE4ELNS1_3repE0EEENS1_30default_config_static_selectorELNS0_4arch9wavefront6targetE0EEEvT1_ ; -- Begin function _ZN7rocprim17ROCPRIM_400000_NS6detail17trampoline_kernelINS0_14default_configENS1_20scan_config_selectorIiEEZZNS1_9scan_implILNS1_25lookback_scan_determinismE0ELb0ELb0ES3_N6thrust23THRUST_200600_302600_NS6detail15normal_iteratorINS9_10device_ptrIiEEEESE_iNS9_4plusIvEEiEEDaPvRmT3_T4_T5_mT6_P12ihipStream_tbENKUlT_T0_E_clISt17integral_constantIbLb0EEST_IbLb1EEEEDaSP_SQ_EUlSP_E0_NS1_11comp_targetILNS1_3genE10ELNS1_11target_archE1200ELNS1_3gpuE4ELNS1_3repE0EEENS1_30default_config_static_selectorELNS0_4arch9wavefront6targetE0EEEvT1_
	.globl	_ZN7rocprim17ROCPRIM_400000_NS6detail17trampoline_kernelINS0_14default_configENS1_20scan_config_selectorIiEEZZNS1_9scan_implILNS1_25lookback_scan_determinismE0ELb0ELb0ES3_N6thrust23THRUST_200600_302600_NS6detail15normal_iteratorINS9_10device_ptrIiEEEESE_iNS9_4plusIvEEiEEDaPvRmT3_T4_T5_mT6_P12ihipStream_tbENKUlT_T0_E_clISt17integral_constantIbLb0EEST_IbLb1EEEEDaSP_SQ_EUlSP_E0_NS1_11comp_targetILNS1_3genE10ELNS1_11target_archE1200ELNS1_3gpuE4ELNS1_3repE0EEENS1_30default_config_static_selectorELNS0_4arch9wavefront6targetE0EEEvT1_
	.p2align	8
	.type	_ZN7rocprim17ROCPRIM_400000_NS6detail17trampoline_kernelINS0_14default_configENS1_20scan_config_selectorIiEEZZNS1_9scan_implILNS1_25lookback_scan_determinismE0ELb0ELb0ES3_N6thrust23THRUST_200600_302600_NS6detail15normal_iteratorINS9_10device_ptrIiEEEESE_iNS9_4plusIvEEiEEDaPvRmT3_T4_T5_mT6_P12ihipStream_tbENKUlT_T0_E_clISt17integral_constantIbLb0EEST_IbLb1EEEEDaSP_SQ_EUlSP_E0_NS1_11comp_targetILNS1_3genE10ELNS1_11target_archE1200ELNS1_3gpuE4ELNS1_3repE0EEENS1_30default_config_static_selectorELNS0_4arch9wavefront6targetE0EEEvT1_,@function
_ZN7rocprim17ROCPRIM_400000_NS6detail17trampoline_kernelINS0_14default_configENS1_20scan_config_selectorIiEEZZNS1_9scan_implILNS1_25lookback_scan_determinismE0ELb0ELb0ES3_N6thrust23THRUST_200600_302600_NS6detail15normal_iteratorINS9_10device_ptrIiEEEESE_iNS9_4plusIvEEiEEDaPvRmT3_T4_T5_mT6_P12ihipStream_tbENKUlT_T0_E_clISt17integral_constantIbLb0EEST_IbLb1EEEEDaSP_SQ_EUlSP_E0_NS1_11comp_targetILNS1_3genE10ELNS1_11target_archE1200ELNS1_3gpuE4ELNS1_3repE0EEENS1_30default_config_static_selectorELNS0_4arch9wavefront6targetE0EEEvT1_: ; @_ZN7rocprim17ROCPRIM_400000_NS6detail17trampoline_kernelINS0_14default_configENS1_20scan_config_selectorIiEEZZNS1_9scan_implILNS1_25lookback_scan_determinismE0ELb0ELb0ES3_N6thrust23THRUST_200600_302600_NS6detail15normal_iteratorINS9_10device_ptrIiEEEESE_iNS9_4plusIvEEiEEDaPvRmT3_T4_T5_mT6_P12ihipStream_tbENKUlT_T0_E_clISt17integral_constantIbLb0EEST_IbLb1EEEEDaSP_SQ_EUlSP_E0_NS1_11comp_targetILNS1_3genE10ELNS1_11target_archE1200ELNS1_3gpuE4ELNS1_3repE0EEENS1_30default_config_static_selectorELNS0_4arch9wavefront6targetE0EEEvT1_
; %bb.0:
	.section	.rodata,"a",@progbits
	.p2align	6, 0x0
	.amdhsa_kernel _ZN7rocprim17ROCPRIM_400000_NS6detail17trampoline_kernelINS0_14default_configENS1_20scan_config_selectorIiEEZZNS1_9scan_implILNS1_25lookback_scan_determinismE0ELb0ELb0ES3_N6thrust23THRUST_200600_302600_NS6detail15normal_iteratorINS9_10device_ptrIiEEEESE_iNS9_4plusIvEEiEEDaPvRmT3_T4_T5_mT6_P12ihipStream_tbENKUlT_T0_E_clISt17integral_constantIbLb0EEST_IbLb1EEEEDaSP_SQ_EUlSP_E0_NS1_11comp_targetILNS1_3genE10ELNS1_11target_archE1200ELNS1_3gpuE4ELNS1_3repE0EEENS1_30default_config_static_selectorELNS0_4arch9wavefront6targetE0EEEvT1_
		.amdhsa_group_segment_fixed_size 0
		.amdhsa_private_segment_fixed_size 0
		.amdhsa_kernarg_size 32
		.amdhsa_user_sgpr_count 15
		.amdhsa_user_sgpr_dispatch_ptr 0
		.amdhsa_user_sgpr_queue_ptr 0
		.amdhsa_user_sgpr_kernarg_segment_ptr 1
		.amdhsa_user_sgpr_dispatch_id 0
		.amdhsa_user_sgpr_private_segment_size 0
		.amdhsa_wavefront_size32 1
		.amdhsa_uses_dynamic_stack 0
		.amdhsa_enable_private_segment 0
		.amdhsa_system_sgpr_workgroup_id_x 1
		.amdhsa_system_sgpr_workgroup_id_y 0
		.amdhsa_system_sgpr_workgroup_id_z 0
		.amdhsa_system_sgpr_workgroup_info 0
		.amdhsa_system_vgpr_workitem_id 0
		.amdhsa_next_free_vgpr 1
		.amdhsa_next_free_sgpr 1
		.amdhsa_reserve_vcc 0
		.amdhsa_float_round_mode_32 0
		.amdhsa_float_round_mode_16_64 0
		.amdhsa_float_denorm_mode_32 3
		.amdhsa_float_denorm_mode_16_64 3
		.amdhsa_dx10_clamp 1
		.amdhsa_ieee_mode 1
		.amdhsa_fp16_overflow 0
		.amdhsa_workgroup_processor_mode 1
		.amdhsa_memory_ordered 1
		.amdhsa_forward_progress 0
		.amdhsa_shared_vgpr_count 0
		.amdhsa_exception_fp_ieee_invalid_op 0
		.amdhsa_exception_fp_denorm_src 0
		.amdhsa_exception_fp_ieee_div_zero 0
		.amdhsa_exception_fp_ieee_overflow 0
		.amdhsa_exception_fp_ieee_underflow 0
		.amdhsa_exception_fp_ieee_inexact 0
		.amdhsa_exception_int_div_zero 0
	.end_amdhsa_kernel
	.section	.text._ZN7rocprim17ROCPRIM_400000_NS6detail17trampoline_kernelINS0_14default_configENS1_20scan_config_selectorIiEEZZNS1_9scan_implILNS1_25lookback_scan_determinismE0ELb0ELb0ES3_N6thrust23THRUST_200600_302600_NS6detail15normal_iteratorINS9_10device_ptrIiEEEESE_iNS9_4plusIvEEiEEDaPvRmT3_T4_T5_mT6_P12ihipStream_tbENKUlT_T0_E_clISt17integral_constantIbLb0EEST_IbLb1EEEEDaSP_SQ_EUlSP_E0_NS1_11comp_targetILNS1_3genE10ELNS1_11target_archE1200ELNS1_3gpuE4ELNS1_3repE0EEENS1_30default_config_static_selectorELNS0_4arch9wavefront6targetE0EEEvT1_,"axG",@progbits,_ZN7rocprim17ROCPRIM_400000_NS6detail17trampoline_kernelINS0_14default_configENS1_20scan_config_selectorIiEEZZNS1_9scan_implILNS1_25lookback_scan_determinismE0ELb0ELb0ES3_N6thrust23THRUST_200600_302600_NS6detail15normal_iteratorINS9_10device_ptrIiEEEESE_iNS9_4plusIvEEiEEDaPvRmT3_T4_T5_mT6_P12ihipStream_tbENKUlT_T0_E_clISt17integral_constantIbLb0EEST_IbLb1EEEEDaSP_SQ_EUlSP_E0_NS1_11comp_targetILNS1_3genE10ELNS1_11target_archE1200ELNS1_3gpuE4ELNS1_3repE0EEENS1_30default_config_static_selectorELNS0_4arch9wavefront6targetE0EEEvT1_,comdat
.Lfunc_end83:
	.size	_ZN7rocprim17ROCPRIM_400000_NS6detail17trampoline_kernelINS0_14default_configENS1_20scan_config_selectorIiEEZZNS1_9scan_implILNS1_25lookback_scan_determinismE0ELb0ELb0ES3_N6thrust23THRUST_200600_302600_NS6detail15normal_iteratorINS9_10device_ptrIiEEEESE_iNS9_4plusIvEEiEEDaPvRmT3_T4_T5_mT6_P12ihipStream_tbENKUlT_T0_E_clISt17integral_constantIbLb0EEST_IbLb1EEEEDaSP_SQ_EUlSP_E0_NS1_11comp_targetILNS1_3genE10ELNS1_11target_archE1200ELNS1_3gpuE4ELNS1_3repE0EEENS1_30default_config_static_selectorELNS0_4arch9wavefront6targetE0EEEvT1_, .Lfunc_end83-_ZN7rocprim17ROCPRIM_400000_NS6detail17trampoline_kernelINS0_14default_configENS1_20scan_config_selectorIiEEZZNS1_9scan_implILNS1_25lookback_scan_determinismE0ELb0ELb0ES3_N6thrust23THRUST_200600_302600_NS6detail15normal_iteratorINS9_10device_ptrIiEEEESE_iNS9_4plusIvEEiEEDaPvRmT3_T4_T5_mT6_P12ihipStream_tbENKUlT_T0_E_clISt17integral_constantIbLb0EEST_IbLb1EEEEDaSP_SQ_EUlSP_E0_NS1_11comp_targetILNS1_3genE10ELNS1_11target_archE1200ELNS1_3gpuE4ELNS1_3repE0EEENS1_30default_config_static_selectorELNS0_4arch9wavefront6targetE0EEEvT1_
                                        ; -- End function
	.section	.AMDGPU.csdata,"",@progbits
; Kernel info:
; codeLenInByte = 0
; NumSgprs: 0
; NumVgprs: 0
; ScratchSize: 0
; MemoryBound: 0
; FloatMode: 240
; IeeeMode: 1
; LDSByteSize: 0 bytes/workgroup (compile time only)
; SGPRBlocks: 0
; VGPRBlocks: 0
; NumSGPRsForWavesPerEU: 1
; NumVGPRsForWavesPerEU: 1
; Occupancy: 16
; WaveLimiterHint : 0
; COMPUTE_PGM_RSRC2:SCRATCH_EN: 0
; COMPUTE_PGM_RSRC2:USER_SGPR: 15
; COMPUTE_PGM_RSRC2:TRAP_HANDLER: 0
; COMPUTE_PGM_RSRC2:TGID_X_EN: 1
; COMPUTE_PGM_RSRC2:TGID_Y_EN: 0
; COMPUTE_PGM_RSRC2:TGID_Z_EN: 0
; COMPUTE_PGM_RSRC2:TIDIG_COMP_CNT: 0
	.section	.text._ZN7rocprim17ROCPRIM_400000_NS6detail17trampoline_kernelINS0_14default_configENS1_20scan_config_selectorIiEEZZNS1_9scan_implILNS1_25lookback_scan_determinismE0ELb0ELb0ES3_N6thrust23THRUST_200600_302600_NS6detail15normal_iteratorINS9_10device_ptrIiEEEESE_iNS9_4plusIvEEiEEDaPvRmT3_T4_T5_mT6_P12ihipStream_tbENKUlT_T0_E_clISt17integral_constantIbLb0EEST_IbLb1EEEEDaSP_SQ_EUlSP_E0_NS1_11comp_targetILNS1_3genE9ELNS1_11target_archE1100ELNS1_3gpuE3ELNS1_3repE0EEENS1_30default_config_static_selectorELNS0_4arch9wavefront6targetE0EEEvT1_,"axG",@progbits,_ZN7rocprim17ROCPRIM_400000_NS6detail17trampoline_kernelINS0_14default_configENS1_20scan_config_selectorIiEEZZNS1_9scan_implILNS1_25lookback_scan_determinismE0ELb0ELb0ES3_N6thrust23THRUST_200600_302600_NS6detail15normal_iteratorINS9_10device_ptrIiEEEESE_iNS9_4plusIvEEiEEDaPvRmT3_T4_T5_mT6_P12ihipStream_tbENKUlT_T0_E_clISt17integral_constantIbLb0EEST_IbLb1EEEEDaSP_SQ_EUlSP_E0_NS1_11comp_targetILNS1_3genE9ELNS1_11target_archE1100ELNS1_3gpuE3ELNS1_3repE0EEENS1_30default_config_static_selectorELNS0_4arch9wavefront6targetE0EEEvT1_,comdat
	.protected	_ZN7rocprim17ROCPRIM_400000_NS6detail17trampoline_kernelINS0_14default_configENS1_20scan_config_selectorIiEEZZNS1_9scan_implILNS1_25lookback_scan_determinismE0ELb0ELb0ES3_N6thrust23THRUST_200600_302600_NS6detail15normal_iteratorINS9_10device_ptrIiEEEESE_iNS9_4plusIvEEiEEDaPvRmT3_T4_T5_mT6_P12ihipStream_tbENKUlT_T0_E_clISt17integral_constantIbLb0EEST_IbLb1EEEEDaSP_SQ_EUlSP_E0_NS1_11comp_targetILNS1_3genE9ELNS1_11target_archE1100ELNS1_3gpuE3ELNS1_3repE0EEENS1_30default_config_static_selectorELNS0_4arch9wavefront6targetE0EEEvT1_ ; -- Begin function _ZN7rocprim17ROCPRIM_400000_NS6detail17trampoline_kernelINS0_14default_configENS1_20scan_config_selectorIiEEZZNS1_9scan_implILNS1_25lookback_scan_determinismE0ELb0ELb0ES3_N6thrust23THRUST_200600_302600_NS6detail15normal_iteratorINS9_10device_ptrIiEEEESE_iNS9_4plusIvEEiEEDaPvRmT3_T4_T5_mT6_P12ihipStream_tbENKUlT_T0_E_clISt17integral_constantIbLb0EEST_IbLb1EEEEDaSP_SQ_EUlSP_E0_NS1_11comp_targetILNS1_3genE9ELNS1_11target_archE1100ELNS1_3gpuE3ELNS1_3repE0EEENS1_30default_config_static_selectorELNS0_4arch9wavefront6targetE0EEEvT1_
	.globl	_ZN7rocprim17ROCPRIM_400000_NS6detail17trampoline_kernelINS0_14default_configENS1_20scan_config_selectorIiEEZZNS1_9scan_implILNS1_25lookback_scan_determinismE0ELb0ELb0ES3_N6thrust23THRUST_200600_302600_NS6detail15normal_iteratorINS9_10device_ptrIiEEEESE_iNS9_4plusIvEEiEEDaPvRmT3_T4_T5_mT6_P12ihipStream_tbENKUlT_T0_E_clISt17integral_constantIbLb0EEST_IbLb1EEEEDaSP_SQ_EUlSP_E0_NS1_11comp_targetILNS1_3genE9ELNS1_11target_archE1100ELNS1_3gpuE3ELNS1_3repE0EEENS1_30default_config_static_selectorELNS0_4arch9wavefront6targetE0EEEvT1_
	.p2align	8
	.type	_ZN7rocprim17ROCPRIM_400000_NS6detail17trampoline_kernelINS0_14default_configENS1_20scan_config_selectorIiEEZZNS1_9scan_implILNS1_25lookback_scan_determinismE0ELb0ELb0ES3_N6thrust23THRUST_200600_302600_NS6detail15normal_iteratorINS9_10device_ptrIiEEEESE_iNS9_4plusIvEEiEEDaPvRmT3_T4_T5_mT6_P12ihipStream_tbENKUlT_T0_E_clISt17integral_constantIbLb0EEST_IbLb1EEEEDaSP_SQ_EUlSP_E0_NS1_11comp_targetILNS1_3genE9ELNS1_11target_archE1100ELNS1_3gpuE3ELNS1_3repE0EEENS1_30default_config_static_selectorELNS0_4arch9wavefront6targetE0EEEvT1_,@function
_ZN7rocprim17ROCPRIM_400000_NS6detail17trampoline_kernelINS0_14default_configENS1_20scan_config_selectorIiEEZZNS1_9scan_implILNS1_25lookback_scan_determinismE0ELb0ELb0ES3_N6thrust23THRUST_200600_302600_NS6detail15normal_iteratorINS9_10device_ptrIiEEEESE_iNS9_4plusIvEEiEEDaPvRmT3_T4_T5_mT6_P12ihipStream_tbENKUlT_T0_E_clISt17integral_constantIbLb0EEST_IbLb1EEEEDaSP_SQ_EUlSP_E0_NS1_11comp_targetILNS1_3genE9ELNS1_11target_archE1100ELNS1_3gpuE3ELNS1_3repE0EEENS1_30default_config_static_selectorELNS0_4arch9wavefront6targetE0EEEvT1_: ; @_ZN7rocprim17ROCPRIM_400000_NS6detail17trampoline_kernelINS0_14default_configENS1_20scan_config_selectorIiEEZZNS1_9scan_implILNS1_25lookback_scan_determinismE0ELb0ELb0ES3_N6thrust23THRUST_200600_302600_NS6detail15normal_iteratorINS9_10device_ptrIiEEEESE_iNS9_4plusIvEEiEEDaPvRmT3_T4_T5_mT6_P12ihipStream_tbENKUlT_T0_E_clISt17integral_constantIbLb0EEST_IbLb1EEEEDaSP_SQ_EUlSP_E0_NS1_11comp_targetILNS1_3genE9ELNS1_11target_archE1100ELNS1_3gpuE3ELNS1_3repE0EEENS1_30default_config_static_selectorELNS0_4arch9wavefront6targetE0EEEvT1_
; %bb.0:
	s_load_b128 s[8:11], s[0:1], 0x0
	v_lshlrev_b32_e32 v5, 2, v0
	s_waitcnt lgkmcnt(0)
	s_load_b32 s4, s[8:9], 0x0
	v_cmp_gt_u32_e32 vcc_lo, s10, v0
	s_waitcnt lgkmcnt(0)
	s_mov_b32 s5, s4
	s_mov_b32 s6, s4
	;; [unrolled: 1-line block ×3, first 2 shown]
	s_delay_alu instid0(SALU_CYCLE_1)
	v_dual_mov_b32 v1, s4 :: v_dual_mov_b32 v4, s7
	v_dual_mov_b32 v11, s4 :: v_dual_mov_b32 v2, s5
	v_mov_b32_e32 v3, s6
	s_and_saveexec_b32 s2, vcc_lo
	s_cbranch_execz .LBB84_2
; %bb.1:
	global_load_b32 v11, v5, s[8:9]
	v_dual_mov_b32 v1, s4 :: v_dual_mov_b32 v2, s5
	v_dual_mov_b32 v3, s6 :: v_dual_mov_b32 v4, s7
                                        ; kill: def $vgpr1 killed $vgpr11 killed $exec
.LBB84_2:
	s_or_b32 exec_lo, exec_lo, s2
	v_or_b32_e32 v1, 0x100, v0
	s_delay_alu instid0(VALU_DEP_1) | instskip(NEXT) | instid1(VALU_DEP_1)
	v_cmp_gt_u32_e64 s2, s10, v1
	s_and_saveexec_b32 s3, s2
	s_cbranch_execz .LBB84_4
; %bb.3:
	global_load_b32 v2, v5, s[8:9] offset:1024
.LBB84_4:
	s_or_b32 exec_lo, exec_lo, s3
	v_or_b32_e32 v6, 0x200, v0
	s_delay_alu instid0(VALU_DEP_1) | instskip(NEXT) | instid1(VALU_DEP_1)
	v_cmp_gt_u32_e64 s3, s10, v6
	s_and_saveexec_b32 s4, s3
	s_cbranch_execz .LBB84_6
; %bb.5:
	global_load_b32 v3, v5, s[8:9] offset:2048
.LBB84_6:
	;; [unrolled: 9-line block ×3, first 2 shown]
	s_or_b32 exec_lo, exec_lo, s5
	v_lshrrev_b32_e32 v10, 3, v0
	v_lshrrev_b32_e32 v1, 3, v1
	;; [unrolled: 1-line block ×4, first 2 shown]
	s_mov_b32 s6, exec_lo
	v_and_b32_e32 v8, 28, v10
	v_and_b32_e32 v1, 60, v1
	;; [unrolled: 1-line block ×4, first 2 shown]
	v_add_lshl_u32 v10, v10, v5, 2
	v_add_nc_u32_e32 v6, v8, v5
	v_add_nc_u32_e32 v7, v1, v5
	;; [unrolled: 1-line block ×4, first 2 shown]
	s_waitcnt vmcnt(0)
	ds_store_b32 v6, v11
	ds_store_b32 v7, v2 offset:1024
	ds_store_b32 v8, v3 offset:2048
	ds_store_b32 v9, v4 offset:3072
	s_waitcnt lgkmcnt(0)
	s_barrier
	buffer_gl0_inv
	ds_load_2addr_b32 v[1:2], v10 offset1:1
	ds_load_2addr_b32 v[3:4], v10 offset0:2 offset1:3
	s_waitcnt lgkmcnt(0)
	s_barrier
	buffer_gl0_inv
	v_add_nc_u32_e32 v11, v2, v1
	s_delay_alu instid0(VALU_DEP_1) | instskip(NEXT) | instid1(VALU_DEP_1)
	v_add_nc_u32_e32 v12, v11, v3
	v_add_nc_u32_e32 v13, v12, v4
	ds_store_b32 v6, v13
	s_waitcnt lgkmcnt(0)
	s_barrier
	buffer_gl0_inv
	v_cmpx_gt_u32_e32 32, v0
	s_cbranch_execz .LBB84_10
; %bb.9:
	v_and_b32_e32 v14, 0xfc, v0
	s_delay_alu instid0(VALU_DEP_1)
	v_lshl_or_b32 v22, v0, 5, v14
	ds_load_2addr_b32 v[14:15], v22 offset1:1
	ds_load_2addr_b32 v[16:17], v22 offset0:2 offset1:3
	ds_load_2addr_b32 v[18:19], v22 offset0:4 offset1:5
	;; [unrolled: 1-line block ×3, first 2 shown]
	; wave barrier
	s_waitcnt lgkmcnt(3)
	v_add_nc_u32_e32 v15, v15, v14
	s_waitcnt lgkmcnt(2)
	s_delay_alu instid0(VALU_DEP_1) | instskip(SKIP_2) | instid1(VALU_DEP_2)
	v_add3_u32 v15, v15, v16, v17
	v_mbcnt_lo_u32_b32 v16, -1, 0
	s_waitcnt lgkmcnt(1)
	v_add3_u32 v15, v15, v18, v19
	s_delay_alu instid0(VALU_DEP_2) | instskip(SKIP_2) | instid1(VALU_DEP_3)
	v_and_b32_e32 v17, 15, v16
	v_bfe_i32 v19, v16, 4, 1
	s_waitcnt lgkmcnt(0)
	v_add3_u32 v15, v15, v20, v21
	s_delay_alu instid0(VALU_DEP_3) | instskip(NEXT) | instid1(VALU_DEP_2)
	v_cmp_ne_u32_e64 s5, 0, v17
	v_mov_b32_dpp v18, v15 row_shr:1 row_mask:0xf bank_mask:0xf
	s_delay_alu instid0(VALU_DEP_1) | instskip(SKIP_1) | instid1(VALU_DEP_2)
	v_cndmask_b32_e64 v18, 0, v18, s5
	v_cmp_lt_u32_e64 s5, 1, v17
	v_add_nc_u32_e32 v15, v18, v15
	s_delay_alu instid0(VALU_DEP_1) | instskip(NEXT) | instid1(VALU_DEP_1)
	v_mov_b32_dpp v18, v15 row_shr:2 row_mask:0xf bank_mask:0xf
	v_cndmask_b32_e64 v18, 0, v18, s5
	v_cmp_lt_u32_e64 s5, 3, v17
	s_delay_alu instid0(VALU_DEP_2) | instskip(NEXT) | instid1(VALU_DEP_1)
	v_add_nc_u32_e32 v15, v15, v18
	v_mov_b32_dpp v18, v15 row_shr:4 row_mask:0xf bank_mask:0xf
	s_delay_alu instid0(VALU_DEP_1) | instskip(SKIP_1) | instid1(VALU_DEP_2)
	v_cndmask_b32_e64 v18, 0, v18, s5
	v_cmp_lt_u32_e64 s5, 7, v17
	v_add_nc_u32_e32 v15, v15, v18
	s_delay_alu instid0(VALU_DEP_1) | instskip(NEXT) | instid1(VALU_DEP_1)
	v_mov_b32_dpp v18, v15 row_shr:8 row_mask:0xf bank_mask:0xf
	v_cndmask_b32_e64 v17, 0, v18, s5
	v_add_nc_u32_e32 v18, -1, v16
	s_delay_alu instid0(VALU_DEP_2) | instskip(NEXT) | instid1(VALU_DEP_2)
	v_add_nc_u32_e32 v15, v15, v17
	v_cmp_gt_i32_e64 s5, 0, v18
	ds_swizzle_b32 v17, v15 offset:swizzle(BROADCAST,32,15)
	v_cndmask_b32_e64 v16, v18, v16, s5
	v_cmp_eq_u32_e64 s5, 0, v0
	s_delay_alu instid0(VALU_DEP_2) | instskip(SKIP_2) | instid1(VALU_DEP_1)
	v_lshlrev_b32_e32 v16, 2, v16
	s_waitcnt lgkmcnt(0)
	v_and_b32_e32 v17, v19, v17
	v_add_nc_u32_e32 v15, v15, v17
	ds_bpermute_b32 v15, v16, v15
	s_waitcnt lgkmcnt(0)
	v_add_nc_u32_e32 v14, v15, v14
	s_delay_alu instid0(VALU_DEP_1)
	v_cndmask_b32_e64 v20, v14, v13, s5
	ds_store_b32 v22, v20
	; wave barrier
	ds_load_2addr_b32 v[14:15], v22 offset0:1 offset1:2
	ds_load_2addr_b32 v[16:17], v22 offset0:3 offset1:4
	;; [unrolled: 1-line block ×3, first 2 shown]
	ds_load_b32 v21, v22 offset:28
	s_waitcnt lgkmcnt(3)
	v_add_nc_u32_e32 v14, v14, v20
	s_delay_alu instid0(VALU_DEP_1) | instskip(SKIP_1) | instid1(VALU_DEP_1)
	v_add_nc_u32_e32 v15, v15, v14
	s_waitcnt lgkmcnt(2)
	v_add_nc_u32_e32 v16, v16, v15
	s_delay_alu instid0(VALU_DEP_1) | instskip(SKIP_1) | instid1(VALU_DEP_1)
	v_add_nc_u32_e32 v17, v17, v16
	;; [unrolled: 4-line block ×3, first 2 shown]
	s_waitcnt lgkmcnt(0)
	v_add_nc_u32_e32 v20, v21, v19
	ds_store_2addr_b32 v22, v14, v15 offset0:1 offset1:2
	ds_store_2addr_b32 v22, v16, v17 offset0:3 offset1:4
	;; [unrolled: 1-line block ×3, first 2 shown]
	ds_store_b32 v22, v20 offset:28
.LBB84_10:
	s_or_b32 exec_lo, exec_lo, s6
	s_load_b64 s[6:7], s[0:1], 0x18
	v_cmp_ne_u32_e64 s0, 0, v0
	v_mov_b32_e32 v14, v13
	s_waitcnt lgkmcnt(0)
	s_barrier
	buffer_gl0_inv
	s_and_saveexec_b32 s1, s0
	s_cbranch_execz .LBB84_12
; %bb.11:
	v_add_nc_u32_e32 v0, -1, v0
	s_delay_alu instid0(VALU_DEP_1) | instskip(NEXT) | instid1(VALU_DEP_1)
	v_lshrrev_b32_e32 v14, 5, v0
	v_add_lshl_u32 v0, v14, v0, 2
	ds_load_b32 v14, v0
.LBB84_12:
	s_or_b32 exec_lo, exec_lo, s1
	s_and_saveexec_b32 s1, s0
	s_cbranch_execz .LBB84_14
; %bb.13:
	s_waitcnt lgkmcnt(0)
	v_add_nc_u32_e32 v1, v14, v1
	;;#ASMSTART
	;;#ASMEND
	s_delay_alu instid0(VALU_DEP_1) | instskip(NEXT) | instid1(VALU_DEP_1)
	v_add_nc_u32_e32 v11, v1, v2
	v_add_nc_u32_e32 v12, v11, v3
	s_delay_alu instid0(VALU_DEP_1)
	v_add_nc_u32_e32 v13, v12, v4
.LBB84_14:
	s_or_b32 exec_lo, exec_lo, s1
	s_waitcnt lgkmcnt(0)
	s_barrier
	buffer_gl0_inv
	ds_store_2addr_b32 v10, v1, v11 offset1:1
	ds_store_2addr_b32 v10, v12, v13 offset0:2 offset1:3
	s_waitcnt lgkmcnt(0)
	s_barrier
	buffer_gl0_inv
	ds_load_b32 v4, v7 offset:1024
	ds_load_b32 v3, v8 offset:2048
	;; [unrolled: 1-line block ×3, first 2 shown]
	v_add_co_u32 v0, s0, s6, v5
	s_delay_alu instid0(VALU_DEP_1)
	v_add_co_ci_u32_e64 v1, null, s7, 0, s0
	s_and_saveexec_b32 s0, vcc_lo
	s_cbranch_execnz .LBB84_19
; %bb.15:
	s_or_b32 exec_lo, exec_lo, s0
	s_and_saveexec_b32 s0, s2
	s_cbranch_execnz .LBB84_20
.LBB84_16:
	s_or_b32 exec_lo, exec_lo, s0
	s_and_saveexec_b32 s0, s3
	s_cbranch_execnz .LBB84_21
.LBB84_17:
	s_or_b32 exec_lo, exec_lo, s0
	s_and_saveexec_b32 s0, s4
	s_cbranch_execnz .LBB84_22
.LBB84_18:
	s_nop 0
	s_sendmsg sendmsg(MSG_DEALLOC_VGPRS)
	s_endpgm
.LBB84_19:
	ds_load_b32 v5, v6
	s_waitcnt lgkmcnt(0)
	global_store_b32 v[0:1], v5, off
	s_or_b32 exec_lo, exec_lo, s0
	s_and_saveexec_b32 s0, s2
	s_cbranch_execz .LBB84_16
.LBB84_20:
	s_waitcnt lgkmcnt(2)
	global_store_b32 v[0:1], v4, off offset:1024
	s_or_b32 exec_lo, exec_lo, s0
	s_and_saveexec_b32 s0, s3
	s_cbranch_execz .LBB84_17
.LBB84_21:
	s_waitcnt lgkmcnt(1)
	global_store_b32 v[0:1], v3, off offset:2048
	s_or_b32 exec_lo, exec_lo, s0
	s_and_saveexec_b32 s0, s4
	s_cbranch_execz .LBB84_18
.LBB84_22:
	s_waitcnt lgkmcnt(0)
	global_store_b32 v[0:1], v2, off offset:3072
	s_nop 0
	s_sendmsg sendmsg(MSG_DEALLOC_VGPRS)
	s_endpgm
	.section	.rodata,"a",@progbits
	.p2align	6, 0x0
	.amdhsa_kernel _ZN7rocprim17ROCPRIM_400000_NS6detail17trampoline_kernelINS0_14default_configENS1_20scan_config_selectorIiEEZZNS1_9scan_implILNS1_25lookback_scan_determinismE0ELb0ELb0ES3_N6thrust23THRUST_200600_302600_NS6detail15normal_iteratorINS9_10device_ptrIiEEEESE_iNS9_4plusIvEEiEEDaPvRmT3_T4_T5_mT6_P12ihipStream_tbENKUlT_T0_E_clISt17integral_constantIbLb0EEST_IbLb1EEEEDaSP_SQ_EUlSP_E0_NS1_11comp_targetILNS1_3genE9ELNS1_11target_archE1100ELNS1_3gpuE3ELNS1_3repE0EEENS1_30default_config_static_selectorELNS0_4arch9wavefront6targetE0EEEvT1_
		.amdhsa_group_segment_fixed_size 4224
		.amdhsa_private_segment_fixed_size 0
		.amdhsa_kernarg_size 32
		.amdhsa_user_sgpr_count 15
		.amdhsa_user_sgpr_dispatch_ptr 0
		.amdhsa_user_sgpr_queue_ptr 0
		.amdhsa_user_sgpr_kernarg_segment_ptr 1
		.amdhsa_user_sgpr_dispatch_id 0
		.amdhsa_user_sgpr_private_segment_size 0
		.amdhsa_wavefront_size32 1
		.amdhsa_uses_dynamic_stack 0
		.amdhsa_enable_private_segment 0
		.amdhsa_system_sgpr_workgroup_id_x 1
		.amdhsa_system_sgpr_workgroup_id_y 0
		.amdhsa_system_sgpr_workgroup_id_z 0
		.amdhsa_system_sgpr_workgroup_info 0
		.amdhsa_system_vgpr_workitem_id 0
		.amdhsa_next_free_vgpr 23
		.amdhsa_next_free_sgpr 12
		.amdhsa_reserve_vcc 1
		.amdhsa_float_round_mode_32 0
		.amdhsa_float_round_mode_16_64 0
		.amdhsa_float_denorm_mode_32 3
		.amdhsa_float_denorm_mode_16_64 3
		.amdhsa_dx10_clamp 1
		.amdhsa_ieee_mode 1
		.amdhsa_fp16_overflow 0
		.amdhsa_workgroup_processor_mode 1
		.amdhsa_memory_ordered 1
		.amdhsa_forward_progress 0
		.amdhsa_shared_vgpr_count 0
		.amdhsa_exception_fp_ieee_invalid_op 0
		.amdhsa_exception_fp_denorm_src 0
		.amdhsa_exception_fp_ieee_div_zero 0
		.amdhsa_exception_fp_ieee_overflow 0
		.amdhsa_exception_fp_ieee_underflow 0
		.amdhsa_exception_fp_ieee_inexact 0
		.amdhsa_exception_int_div_zero 0
	.end_amdhsa_kernel
	.section	.text._ZN7rocprim17ROCPRIM_400000_NS6detail17trampoline_kernelINS0_14default_configENS1_20scan_config_selectorIiEEZZNS1_9scan_implILNS1_25lookback_scan_determinismE0ELb0ELb0ES3_N6thrust23THRUST_200600_302600_NS6detail15normal_iteratorINS9_10device_ptrIiEEEESE_iNS9_4plusIvEEiEEDaPvRmT3_T4_T5_mT6_P12ihipStream_tbENKUlT_T0_E_clISt17integral_constantIbLb0EEST_IbLb1EEEEDaSP_SQ_EUlSP_E0_NS1_11comp_targetILNS1_3genE9ELNS1_11target_archE1100ELNS1_3gpuE3ELNS1_3repE0EEENS1_30default_config_static_selectorELNS0_4arch9wavefront6targetE0EEEvT1_,"axG",@progbits,_ZN7rocprim17ROCPRIM_400000_NS6detail17trampoline_kernelINS0_14default_configENS1_20scan_config_selectorIiEEZZNS1_9scan_implILNS1_25lookback_scan_determinismE0ELb0ELb0ES3_N6thrust23THRUST_200600_302600_NS6detail15normal_iteratorINS9_10device_ptrIiEEEESE_iNS9_4plusIvEEiEEDaPvRmT3_T4_T5_mT6_P12ihipStream_tbENKUlT_T0_E_clISt17integral_constantIbLb0EEST_IbLb1EEEEDaSP_SQ_EUlSP_E0_NS1_11comp_targetILNS1_3genE9ELNS1_11target_archE1100ELNS1_3gpuE3ELNS1_3repE0EEENS1_30default_config_static_selectorELNS0_4arch9wavefront6targetE0EEEvT1_,comdat
.Lfunc_end84:
	.size	_ZN7rocprim17ROCPRIM_400000_NS6detail17trampoline_kernelINS0_14default_configENS1_20scan_config_selectorIiEEZZNS1_9scan_implILNS1_25lookback_scan_determinismE0ELb0ELb0ES3_N6thrust23THRUST_200600_302600_NS6detail15normal_iteratorINS9_10device_ptrIiEEEESE_iNS9_4plusIvEEiEEDaPvRmT3_T4_T5_mT6_P12ihipStream_tbENKUlT_T0_E_clISt17integral_constantIbLb0EEST_IbLb1EEEEDaSP_SQ_EUlSP_E0_NS1_11comp_targetILNS1_3genE9ELNS1_11target_archE1100ELNS1_3gpuE3ELNS1_3repE0EEENS1_30default_config_static_selectorELNS0_4arch9wavefront6targetE0EEEvT1_, .Lfunc_end84-_ZN7rocprim17ROCPRIM_400000_NS6detail17trampoline_kernelINS0_14default_configENS1_20scan_config_selectorIiEEZZNS1_9scan_implILNS1_25lookback_scan_determinismE0ELb0ELb0ES3_N6thrust23THRUST_200600_302600_NS6detail15normal_iteratorINS9_10device_ptrIiEEEESE_iNS9_4plusIvEEiEEDaPvRmT3_T4_T5_mT6_P12ihipStream_tbENKUlT_T0_E_clISt17integral_constantIbLb0EEST_IbLb1EEEEDaSP_SQ_EUlSP_E0_NS1_11comp_targetILNS1_3genE9ELNS1_11target_archE1100ELNS1_3gpuE3ELNS1_3repE0EEENS1_30default_config_static_selectorELNS0_4arch9wavefront6targetE0EEEvT1_
                                        ; -- End function
	.section	.AMDGPU.csdata,"",@progbits
; Kernel info:
; codeLenInByte = 1272
; NumSgprs: 14
; NumVgprs: 23
; ScratchSize: 0
; MemoryBound: 0
; FloatMode: 240
; IeeeMode: 1
; LDSByteSize: 4224 bytes/workgroup (compile time only)
; SGPRBlocks: 1
; VGPRBlocks: 2
; NumSGPRsForWavesPerEU: 14
; NumVGPRsForWavesPerEU: 23
; Occupancy: 16
; WaveLimiterHint : 0
; COMPUTE_PGM_RSRC2:SCRATCH_EN: 0
; COMPUTE_PGM_RSRC2:USER_SGPR: 15
; COMPUTE_PGM_RSRC2:TRAP_HANDLER: 0
; COMPUTE_PGM_RSRC2:TGID_X_EN: 1
; COMPUTE_PGM_RSRC2:TGID_Y_EN: 0
; COMPUTE_PGM_RSRC2:TGID_Z_EN: 0
; COMPUTE_PGM_RSRC2:TIDIG_COMP_CNT: 0
	.section	.text._ZN7rocprim17ROCPRIM_400000_NS6detail17trampoline_kernelINS0_14default_configENS1_20scan_config_selectorIiEEZZNS1_9scan_implILNS1_25lookback_scan_determinismE0ELb0ELb0ES3_N6thrust23THRUST_200600_302600_NS6detail15normal_iteratorINS9_10device_ptrIiEEEESE_iNS9_4plusIvEEiEEDaPvRmT3_T4_T5_mT6_P12ihipStream_tbENKUlT_T0_E_clISt17integral_constantIbLb0EEST_IbLb1EEEEDaSP_SQ_EUlSP_E0_NS1_11comp_targetILNS1_3genE8ELNS1_11target_archE1030ELNS1_3gpuE2ELNS1_3repE0EEENS1_30default_config_static_selectorELNS0_4arch9wavefront6targetE0EEEvT1_,"axG",@progbits,_ZN7rocprim17ROCPRIM_400000_NS6detail17trampoline_kernelINS0_14default_configENS1_20scan_config_selectorIiEEZZNS1_9scan_implILNS1_25lookback_scan_determinismE0ELb0ELb0ES3_N6thrust23THRUST_200600_302600_NS6detail15normal_iteratorINS9_10device_ptrIiEEEESE_iNS9_4plusIvEEiEEDaPvRmT3_T4_T5_mT6_P12ihipStream_tbENKUlT_T0_E_clISt17integral_constantIbLb0EEST_IbLb1EEEEDaSP_SQ_EUlSP_E0_NS1_11comp_targetILNS1_3genE8ELNS1_11target_archE1030ELNS1_3gpuE2ELNS1_3repE0EEENS1_30default_config_static_selectorELNS0_4arch9wavefront6targetE0EEEvT1_,comdat
	.protected	_ZN7rocprim17ROCPRIM_400000_NS6detail17trampoline_kernelINS0_14default_configENS1_20scan_config_selectorIiEEZZNS1_9scan_implILNS1_25lookback_scan_determinismE0ELb0ELb0ES3_N6thrust23THRUST_200600_302600_NS6detail15normal_iteratorINS9_10device_ptrIiEEEESE_iNS9_4plusIvEEiEEDaPvRmT3_T4_T5_mT6_P12ihipStream_tbENKUlT_T0_E_clISt17integral_constantIbLb0EEST_IbLb1EEEEDaSP_SQ_EUlSP_E0_NS1_11comp_targetILNS1_3genE8ELNS1_11target_archE1030ELNS1_3gpuE2ELNS1_3repE0EEENS1_30default_config_static_selectorELNS0_4arch9wavefront6targetE0EEEvT1_ ; -- Begin function _ZN7rocprim17ROCPRIM_400000_NS6detail17trampoline_kernelINS0_14default_configENS1_20scan_config_selectorIiEEZZNS1_9scan_implILNS1_25lookback_scan_determinismE0ELb0ELb0ES3_N6thrust23THRUST_200600_302600_NS6detail15normal_iteratorINS9_10device_ptrIiEEEESE_iNS9_4plusIvEEiEEDaPvRmT3_T4_T5_mT6_P12ihipStream_tbENKUlT_T0_E_clISt17integral_constantIbLb0EEST_IbLb1EEEEDaSP_SQ_EUlSP_E0_NS1_11comp_targetILNS1_3genE8ELNS1_11target_archE1030ELNS1_3gpuE2ELNS1_3repE0EEENS1_30default_config_static_selectorELNS0_4arch9wavefront6targetE0EEEvT1_
	.globl	_ZN7rocprim17ROCPRIM_400000_NS6detail17trampoline_kernelINS0_14default_configENS1_20scan_config_selectorIiEEZZNS1_9scan_implILNS1_25lookback_scan_determinismE0ELb0ELb0ES3_N6thrust23THRUST_200600_302600_NS6detail15normal_iteratorINS9_10device_ptrIiEEEESE_iNS9_4plusIvEEiEEDaPvRmT3_T4_T5_mT6_P12ihipStream_tbENKUlT_T0_E_clISt17integral_constantIbLb0EEST_IbLb1EEEEDaSP_SQ_EUlSP_E0_NS1_11comp_targetILNS1_3genE8ELNS1_11target_archE1030ELNS1_3gpuE2ELNS1_3repE0EEENS1_30default_config_static_selectorELNS0_4arch9wavefront6targetE0EEEvT1_
	.p2align	8
	.type	_ZN7rocprim17ROCPRIM_400000_NS6detail17trampoline_kernelINS0_14default_configENS1_20scan_config_selectorIiEEZZNS1_9scan_implILNS1_25lookback_scan_determinismE0ELb0ELb0ES3_N6thrust23THRUST_200600_302600_NS6detail15normal_iteratorINS9_10device_ptrIiEEEESE_iNS9_4plusIvEEiEEDaPvRmT3_T4_T5_mT6_P12ihipStream_tbENKUlT_T0_E_clISt17integral_constantIbLb0EEST_IbLb1EEEEDaSP_SQ_EUlSP_E0_NS1_11comp_targetILNS1_3genE8ELNS1_11target_archE1030ELNS1_3gpuE2ELNS1_3repE0EEENS1_30default_config_static_selectorELNS0_4arch9wavefront6targetE0EEEvT1_,@function
_ZN7rocprim17ROCPRIM_400000_NS6detail17trampoline_kernelINS0_14default_configENS1_20scan_config_selectorIiEEZZNS1_9scan_implILNS1_25lookback_scan_determinismE0ELb0ELb0ES3_N6thrust23THRUST_200600_302600_NS6detail15normal_iteratorINS9_10device_ptrIiEEEESE_iNS9_4plusIvEEiEEDaPvRmT3_T4_T5_mT6_P12ihipStream_tbENKUlT_T0_E_clISt17integral_constantIbLb0EEST_IbLb1EEEEDaSP_SQ_EUlSP_E0_NS1_11comp_targetILNS1_3genE8ELNS1_11target_archE1030ELNS1_3gpuE2ELNS1_3repE0EEENS1_30default_config_static_selectorELNS0_4arch9wavefront6targetE0EEEvT1_: ; @_ZN7rocprim17ROCPRIM_400000_NS6detail17trampoline_kernelINS0_14default_configENS1_20scan_config_selectorIiEEZZNS1_9scan_implILNS1_25lookback_scan_determinismE0ELb0ELb0ES3_N6thrust23THRUST_200600_302600_NS6detail15normal_iteratorINS9_10device_ptrIiEEEESE_iNS9_4plusIvEEiEEDaPvRmT3_T4_T5_mT6_P12ihipStream_tbENKUlT_T0_E_clISt17integral_constantIbLb0EEST_IbLb1EEEEDaSP_SQ_EUlSP_E0_NS1_11comp_targetILNS1_3genE8ELNS1_11target_archE1030ELNS1_3gpuE2ELNS1_3repE0EEENS1_30default_config_static_selectorELNS0_4arch9wavefront6targetE0EEEvT1_
; %bb.0:
	.section	.rodata,"a",@progbits
	.p2align	6, 0x0
	.amdhsa_kernel _ZN7rocprim17ROCPRIM_400000_NS6detail17trampoline_kernelINS0_14default_configENS1_20scan_config_selectorIiEEZZNS1_9scan_implILNS1_25lookback_scan_determinismE0ELb0ELb0ES3_N6thrust23THRUST_200600_302600_NS6detail15normal_iteratorINS9_10device_ptrIiEEEESE_iNS9_4plusIvEEiEEDaPvRmT3_T4_T5_mT6_P12ihipStream_tbENKUlT_T0_E_clISt17integral_constantIbLb0EEST_IbLb1EEEEDaSP_SQ_EUlSP_E0_NS1_11comp_targetILNS1_3genE8ELNS1_11target_archE1030ELNS1_3gpuE2ELNS1_3repE0EEENS1_30default_config_static_selectorELNS0_4arch9wavefront6targetE0EEEvT1_
		.amdhsa_group_segment_fixed_size 0
		.amdhsa_private_segment_fixed_size 0
		.amdhsa_kernarg_size 32
		.amdhsa_user_sgpr_count 15
		.amdhsa_user_sgpr_dispatch_ptr 0
		.amdhsa_user_sgpr_queue_ptr 0
		.amdhsa_user_sgpr_kernarg_segment_ptr 1
		.amdhsa_user_sgpr_dispatch_id 0
		.amdhsa_user_sgpr_private_segment_size 0
		.amdhsa_wavefront_size32 1
		.amdhsa_uses_dynamic_stack 0
		.amdhsa_enable_private_segment 0
		.amdhsa_system_sgpr_workgroup_id_x 1
		.amdhsa_system_sgpr_workgroup_id_y 0
		.amdhsa_system_sgpr_workgroup_id_z 0
		.amdhsa_system_sgpr_workgroup_info 0
		.amdhsa_system_vgpr_workitem_id 0
		.amdhsa_next_free_vgpr 1
		.amdhsa_next_free_sgpr 1
		.amdhsa_reserve_vcc 0
		.amdhsa_float_round_mode_32 0
		.amdhsa_float_round_mode_16_64 0
		.amdhsa_float_denorm_mode_32 3
		.amdhsa_float_denorm_mode_16_64 3
		.amdhsa_dx10_clamp 1
		.amdhsa_ieee_mode 1
		.amdhsa_fp16_overflow 0
		.amdhsa_workgroup_processor_mode 1
		.amdhsa_memory_ordered 1
		.amdhsa_forward_progress 0
		.amdhsa_shared_vgpr_count 0
		.amdhsa_exception_fp_ieee_invalid_op 0
		.amdhsa_exception_fp_denorm_src 0
		.amdhsa_exception_fp_ieee_div_zero 0
		.amdhsa_exception_fp_ieee_overflow 0
		.amdhsa_exception_fp_ieee_underflow 0
		.amdhsa_exception_fp_ieee_inexact 0
		.amdhsa_exception_int_div_zero 0
	.end_amdhsa_kernel
	.section	.text._ZN7rocprim17ROCPRIM_400000_NS6detail17trampoline_kernelINS0_14default_configENS1_20scan_config_selectorIiEEZZNS1_9scan_implILNS1_25lookback_scan_determinismE0ELb0ELb0ES3_N6thrust23THRUST_200600_302600_NS6detail15normal_iteratorINS9_10device_ptrIiEEEESE_iNS9_4plusIvEEiEEDaPvRmT3_T4_T5_mT6_P12ihipStream_tbENKUlT_T0_E_clISt17integral_constantIbLb0EEST_IbLb1EEEEDaSP_SQ_EUlSP_E0_NS1_11comp_targetILNS1_3genE8ELNS1_11target_archE1030ELNS1_3gpuE2ELNS1_3repE0EEENS1_30default_config_static_selectorELNS0_4arch9wavefront6targetE0EEEvT1_,"axG",@progbits,_ZN7rocprim17ROCPRIM_400000_NS6detail17trampoline_kernelINS0_14default_configENS1_20scan_config_selectorIiEEZZNS1_9scan_implILNS1_25lookback_scan_determinismE0ELb0ELb0ES3_N6thrust23THRUST_200600_302600_NS6detail15normal_iteratorINS9_10device_ptrIiEEEESE_iNS9_4plusIvEEiEEDaPvRmT3_T4_T5_mT6_P12ihipStream_tbENKUlT_T0_E_clISt17integral_constantIbLb0EEST_IbLb1EEEEDaSP_SQ_EUlSP_E0_NS1_11comp_targetILNS1_3genE8ELNS1_11target_archE1030ELNS1_3gpuE2ELNS1_3repE0EEENS1_30default_config_static_selectorELNS0_4arch9wavefront6targetE0EEEvT1_,comdat
.Lfunc_end85:
	.size	_ZN7rocprim17ROCPRIM_400000_NS6detail17trampoline_kernelINS0_14default_configENS1_20scan_config_selectorIiEEZZNS1_9scan_implILNS1_25lookback_scan_determinismE0ELb0ELb0ES3_N6thrust23THRUST_200600_302600_NS6detail15normal_iteratorINS9_10device_ptrIiEEEESE_iNS9_4plusIvEEiEEDaPvRmT3_T4_T5_mT6_P12ihipStream_tbENKUlT_T0_E_clISt17integral_constantIbLb0EEST_IbLb1EEEEDaSP_SQ_EUlSP_E0_NS1_11comp_targetILNS1_3genE8ELNS1_11target_archE1030ELNS1_3gpuE2ELNS1_3repE0EEENS1_30default_config_static_selectorELNS0_4arch9wavefront6targetE0EEEvT1_, .Lfunc_end85-_ZN7rocprim17ROCPRIM_400000_NS6detail17trampoline_kernelINS0_14default_configENS1_20scan_config_selectorIiEEZZNS1_9scan_implILNS1_25lookback_scan_determinismE0ELb0ELb0ES3_N6thrust23THRUST_200600_302600_NS6detail15normal_iteratorINS9_10device_ptrIiEEEESE_iNS9_4plusIvEEiEEDaPvRmT3_T4_T5_mT6_P12ihipStream_tbENKUlT_T0_E_clISt17integral_constantIbLb0EEST_IbLb1EEEEDaSP_SQ_EUlSP_E0_NS1_11comp_targetILNS1_3genE8ELNS1_11target_archE1030ELNS1_3gpuE2ELNS1_3repE0EEENS1_30default_config_static_selectorELNS0_4arch9wavefront6targetE0EEEvT1_
                                        ; -- End function
	.section	.AMDGPU.csdata,"",@progbits
; Kernel info:
; codeLenInByte = 0
; NumSgprs: 0
; NumVgprs: 0
; ScratchSize: 0
; MemoryBound: 0
; FloatMode: 240
; IeeeMode: 1
; LDSByteSize: 0 bytes/workgroup (compile time only)
; SGPRBlocks: 0
; VGPRBlocks: 0
; NumSGPRsForWavesPerEU: 1
; NumVGPRsForWavesPerEU: 1
; Occupancy: 16
; WaveLimiterHint : 0
; COMPUTE_PGM_RSRC2:SCRATCH_EN: 0
; COMPUTE_PGM_RSRC2:USER_SGPR: 15
; COMPUTE_PGM_RSRC2:TRAP_HANDLER: 0
; COMPUTE_PGM_RSRC2:TGID_X_EN: 1
; COMPUTE_PGM_RSRC2:TGID_Y_EN: 0
; COMPUTE_PGM_RSRC2:TGID_Z_EN: 0
; COMPUTE_PGM_RSRC2:TIDIG_COMP_CNT: 0
	.section	.text._ZN7rocprim17ROCPRIM_400000_NS6detail17trampoline_kernelINS0_14default_configENS1_27lower_bound_config_selectorIiiEEZNS1_14transform_implILb0ES3_S5_N6thrust23THRUST_200600_302600_NS17counting_iteratorIiNS8_11use_defaultESA_SA_EENS8_6detail15normal_iteratorINS8_10device_ptrIiEEEEZNS1_13binary_searchIS3_S5_SG_SB_SG_NS1_21lower_bound_search_opENSC_16wrapped_functionINS0_4lessIvEEbEEEE10hipError_tPvRmT1_T2_T3_mmT4_T5_P12ihipStream_tbEUlRKiE_EESN_SR_SS_mST_SW_bEUlT_E_NS1_11comp_targetILNS1_3genE0ELNS1_11target_archE4294967295ELNS1_3gpuE0ELNS1_3repE0EEENS1_30default_config_static_selectorELNS0_4arch9wavefront6targetE0EEEvSQ_,"axG",@progbits,_ZN7rocprim17ROCPRIM_400000_NS6detail17trampoline_kernelINS0_14default_configENS1_27lower_bound_config_selectorIiiEEZNS1_14transform_implILb0ES3_S5_N6thrust23THRUST_200600_302600_NS17counting_iteratorIiNS8_11use_defaultESA_SA_EENS8_6detail15normal_iteratorINS8_10device_ptrIiEEEEZNS1_13binary_searchIS3_S5_SG_SB_SG_NS1_21lower_bound_search_opENSC_16wrapped_functionINS0_4lessIvEEbEEEE10hipError_tPvRmT1_T2_T3_mmT4_T5_P12ihipStream_tbEUlRKiE_EESN_SR_SS_mST_SW_bEUlT_E_NS1_11comp_targetILNS1_3genE0ELNS1_11target_archE4294967295ELNS1_3gpuE0ELNS1_3repE0EEENS1_30default_config_static_selectorELNS0_4arch9wavefront6targetE0EEEvSQ_,comdat
	.protected	_ZN7rocprim17ROCPRIM_400000_NS6detail17trampoline_kernelINS0_14default_configENS1_27lower_bound_config_selectorIiiEEZNS1_14transform_implILb0ES3_S5_N6thrust23THRUST_200600_302600_NS17counting_iteratorIiNS8_11use_defaultESA_SA_EENS8_6detail15normal_iteratorINS8_10device_ptrIiEEEEZNS1_13binary_searchIS3_S5_SG_SB_SG_NS1_21lower_bound_search_opENSC_16wrapped_functionINS0_4lessIvEEbEEEE10hipError_tPvRmT1_T2_T3_mmT4_T5_P12ihipStream_tbEUlRKiE_EESN_SR_SS_mST_SW_bEUlT_E_NS1_11comp_targetILNS1_3genE0ELNS1_11target_archE4294967295ELNS1_3gpuE0ELNS1_3repE0EEENS1_30default_config_static_selectorELNS0_4arch9wavefront6targetE0EEEvSQ_ ; -- Begin function _ZN7rocprim17ROCPRIM_400000_NS6detail17trampoline_kernelINS0_14default_configENS1_27lower_bound_config_selectorIiiEEZNS1_14transform_implILb0ES3_S5_N6thrust23THRUST_200600_302600_NS17counting_iteratorIiNS8_11use_defaultESA_SA_EENS8_6detail15normal_iteratorINS8_10device_ptrIiEEEEZNS1_13binary_searchIS3_S5_SG_SB_SG_NS1_21lower_bound_search_opENSC_16wrapped_functionINS0_4lessIvEEbEEEE10hipError_tPvRmT1_T2_T3_mmT4_T5_P12ihipStream_tbEUlRKiE_EESN_SR_SS_mST_SW_bEUlT_E_NS1_11comp_targetILNS1_3genE0ELNS1_11target_archE4294967295ELNS1_3gpuE0ELNS1_3repE0EEENS1_30default_config_static_selectorELNS0_4arch9wavefront6targetE0EEEvSQ_
	.globl	_ZN7rocprim17ROCPRIM_400000_NS6detail17trampoline_kernelINS0_14default_configENS1_27lower_bound_config_selectorIiiEEZNS1_14transform_implILb0ES3_S5_N6thrust23THRUST_200600_302600_NS17counting_iteratorIiNS8_11use_defaultESA_SA_EENS8_6detail15normal_iteratorINS8_10device_ptrIiEEEEZNS1_13binary_searchIS3_S5_SG_SB_SG_NS1_21lower_bound_search_opENSC_16wrapped_functionINS0_4lessIvEEbEEEE10hipError_tPvRmT1_T2_T3_mmT4_T5_P12ihipStream_tbEUlRKiE_EESN_SR_SS_mST_SW_bEUlT_E_NS1_11comp_targetILNS1_3genE0ELNS1_11target_archE4294967295ELNS1_3gpuE0ELNS1_3repE0EEENS1_30default_config_static_selectorELNS0_4arch9wavefront6targetE0EEEvSQ_
	.p2align	8
	.type	_ZN7rocprim17ROCPRIM_400000_NS6detail17trampoline_kernelINS0_14default_configENS1_27lower_bound_config_selectorIiiEEZNS1_14transform_implILb0ES3_S5_N6thrust23THRUST_200600_302600_NS17counting_iteratorIiNS8_11use_defaultESA_SA_EENS8_6detail15normal_iteratorINS8_10device_ptrIiEEEEZNS1_13binary_searchIS3_S5_SG_SB_SG_NS1_21lower_bound_search_opENSC_16wrapped_functionINS0_4lessIvEEbEEEE10hipError_tPvRmT1_T2_T3_mmT4_T5_P12ihipStream_tbEUlRKiE_EESN_SR_SS_mST_SW_bEUlT_E_NS1_11comp_targetILNS1_3genE0ELNS1_11target_archE4294967295ELNS1_3gpuE0ELNS1_3repE0EEENS1_30default_config_static_selectorELNS0_4arch9wavefront6targetE0EEEvSQ_,@function
_ZN7rocprim17ROCPRIM_400000_NS6detail17trampoline_kernelINS0_14default_configENS1_27lower_bound_config_selectorIiiEEZNS1_14transform_implILb0ES3_S5_N6thrust23THRUST_200600_302600_NS17counting_iteratorIiNS8_11use_defaultESA_SA_EENS8_6detail15normal_iteratorINS8_10device_ptrIiEEEEZNS1_13binary_searchIS3_S5_SG_SB_SG_NS1_21lower_bound_search_opENSC_16wrapped_functionINS0_4lessIvEEbEEEE10hipError_tPvRmT1_T2_T3_mmT4_T5_P12ihipStream_tbEUlRKiE_EESN_SR_SS_mST_SW_bEUlT_E_NS1_11comp_targetILNS1_3genE0ELNS1_11target_archE4294967295ELNS1_3gpuE0ELNS1_3repE0EEENS1_30default_config_static_selectorELNS0_4arch9wavefront6targetE0EEEvSQ_: ; @_ZN7rocprim17ROCPRIM_400000_NS6detail17trampoline_kernelINS0_14default_configENS1_27lower_bound_config_selectorIiiEEZNS1_14transform_implILb0ES3_S5_N6thrust23THRUST_200600_302600_NS17counting_iteratorIiNS8_11use_defaultESA_SA_EENS8_6detail15normal_iteratorINS8_10device_ptrIiEEEEZNS1_13binary_searchIS3_S5_SG_SB_SG_NS1_21lower_bound_search_opENSC_16wrapped_functionINS0_4lessIvEEbEEEE10hipError_tPvRmT1_T2_T3_mmT4_T5_P12ihipStream_tbEUlRKiE_EESN_SR_SS_mST_SW_bEUlT_E_NS1_11comp_targetILNS1_3genE0ELNS1_11target_archE4294967295ELNS1_3gpuE0ELNS1_3repE0EEENS1_30default_config_static_selectorELNS0_4arch9wavefront6targetE0EEEvSQ_
; %bb.0:
	.section	.rodata,"a",@progbits
	.p2align	6, 0x0
	.amdhsa_kernel _ZN7rocprim17ROCPRIM_400000_NS6detail17trampoline_kernelINS0_14default_configENS1_27lower_bound_config_selectorIiiEEZNS1_14transform_implILb0ES3_S5_N6thrust23THRUST_200600_302600_NS17counting_iteratorIiNS8_11use_defaultESA_SA_EENS8_6detail15normal_iteratorINS8_10device_ptrIiEEEEZNS1_13binary_searchIS3_S5_SG_SB_SG_NS1_21lower_bound_search_opENSC_16wrapped_functionINS0_4lessIvEEbEEEE10hipError_tPvRmT1_T2_T3_mmT4_T5_P12ihipStream_tbEUlRKiE_EESN_SR_SS_mST_SW_bEUlT_E_NS1_11comp_targetILNS1_3genE0ELNS1_11target_archE4294967295ELNS1_3gpuE0ELNS1_3repE0EEENS1_30default_config_static_selectorELNS0_4arch9wavefront6targetE0EEEvSQ_
		.amdhsa_group_segment_fixed_size 0
		.amdhsa_private_segment_fixed_size 0
		.amdhsa_kernarg_size 56
		.amdhsa_user_sgpr_count 15
		.amdhsa_user_sgpr_dispatch_ptr 0
		.amdhsa_user_sgpr_queue_ptr 0
		.amdhsa_user_sgpr_kernarg_segment_ptr 1
		.amdhsa_user_sgpr_dispatch_id 0
		.amdhsa_user_sgpr_private_segment_size 0
		.amdhsa_wavefront_size32 1
		.amdhsa_uses_dynamic_stack 0
		.amdhsa_enable_private_segment 0
		.amdhsa_system_sgpr_workgroup_id_x 1
		.amdhsa_system_sgpr_workgroup_id_y 0
		.amdhsa_system_sgpr_workgroup_id_z 0
		.amdhsa_system_sgpr_workgroup_info 0
		.amdhsa_system_vgpr_workitem_id 0
		.amdhsa_next_free_vgpr 1
		.amdhsa_next_free_sgpr 1
		.amdhsa_reserve_vcc 0
		.amdhsa_float_round_mode_32 0
		.amdhsa_float_round_mode_16_64 0
		.amdhsa_float_denorm_mode_32 3
		.amdhsa_float_denorm_mode_16_64 3
		.amdhsa_dx10_clamp 1
		.amdhsa_ieee_mode 1
		.amdhsa_fp16_overflow 0
		.amdhsa_workgroup_processor_mode 1
		.amdhsa_memory_ordered 1
		.amdhsa_forward_progress 0
		.amdhsa_shared_vgpr_count 0
		.amdhsa_exception_fp_ieee_invalid_op 0
		.amdhsa_exception_fp_denorm_src 0
		.amdhsa_exception_fp_ieee_div_zero 0
		.amdhsa_exception_fp_ieee_overflow 0
		.amdhsa_exception_fp_ieee_underflow 0
		.amdhsa_exception_fp_ieee_inexact 0
		.amdhsa_exception_int_div_zero 0
	.end_amdhsa_kernel
	.section	.text._ZN7rocprim17ROCPRIM_400000_NS6detail17trampoline_kernelINS0_14default_configENS1_27lower_bound_config_selectorIiiEEZNS1_14transform_implILb0ES3_S5_N6thrust23THRUST_200600_302600_NS17counting_iteratorIiNS8_11use_defaultESA_SA_EENS8_6detail15normal_iteratorINS8_10device_ptrIiEEEEZNS1_13binary_searchIS3_S5_SG_SB_SG_NS1_21lower_bound_search_opENSC_16wrapped_functionINS0_4lessIvEEbEEEE10hipError_tPvRmT1_T2_T3_mmT4_T5_P12ihipStream_tbEUlRKiE_EESN_SR_SS_mST_SW_bEUlT_E_NS1_11comp_targetILNS1_3genE0ELNS1_11target_archE4294967295ELNS1_3gpuE0ELNS1_3repE0EEENS1_30default_config_static_selectorELNS0_4arch9wavefront6targetE0EEEvSQ_,"axG",@progbits,_ZN7rocprim17ROCPRIM_400000_NS6detail17trampoline_kernelINS0_14default_configENS1_27lower_bound_config_selectorIiiEEZNS1_14transform_implILb0ES3_S5_N6thrust23THRUST_200600_302600_NS17counting_iteratorIiNS8_11use_defaultESA_SA_EENS8_6detail15normal_iteratorINS8_10device_ptrIiEEEEZNS1_13binary_searchIS3_S5_SG_SB_SG_NS1_21lower_bound_search_opENSC_16wrapped_functionINS0_4lessIvEEbEEEE10hipError_tPvRmT1_T2_T3_mmT4_T5_P12ihipStream_tbEUlRKiE_EESN_SR_SS_mST_SW_bEUlT_E_NS1_11comp_targetILNS1_3genE0ELNS1_11target_archE4294967295ELNS1_3gpuE0ELNS1_3repE0EEENS1_30default_config_static_selectorELNS0_4arch9wavefront6targetE0EEEvSQ_,comdat
.Lfunc_end86:
	.size	_ZN7rocprim17ROCPRIM_400000_NS6detail17trampoline_kernelINS0_14default_configENS1_27lower_bound_config_selectorIiiEEZNS1_14transform_implILb0ES3_S5_N6thrust23THRUST_200600_302600_NS17counting_iteratorIiNS8_11use_defaultESA_SA_EENS8_6detail15normal_iteratorINS8_10device_ptrIiEEEEZNS1_13binary_searchIS3_S5_SG_SB_SG_NS1_21lower_bound_search_opENSC_16wrapped_functionINS0_4lessIvEEbEEEE10hipError_tPvRmT1_T2_T3_mmT4_T5_P12ihipStream_tbEUlRKiE_EESN_SR_SS_mST_SW_bEUlT_E_NS1_11comp_targetILNS1_3genE0ELNS1_11target_archE4294967295ELNS1_3gpuE0ELNS1_3repE0EEENS1_30default_config_static_selectorELNS0_4arch9wavefront6targetE0EEEvSQ_, .Lfunc_end86-_ZN7rocprim17ROCPRIM_400000_NS6detail17trampoline_kernelINS0_14default_configENS1_27lower_bound_config_selectorIiiEEZNS1_14transform_implILb0ES3_S5_N6thrust23THRUST_200600_302600_NS17counting_iteratorIiNS8_11use_defaultESA_SA_EENS8_6detail15normal_iteratorINS8_10device_ptrIiEEEEZNS1_13binary_searchIS3_S5_SG_SB_SG_NS1_21lower_bound_search_opENSC_16wrapped_functionINS0_4lessIvEEbEEEE10hipError_tPvRmT1_T2_T3_mmT4_T5_P12ihipStream_tbEUlRKiE_EESN_SR_SS_mST_SW_bEUlT_E_NS1_11comp_targetILNS1_3genE0ELNS1_11target_archE4294967295ELNS1_3gpuE0ELNS1_3repE0EEENS1_30default_config_static_selectorELNS0_4arch9wavefront6targetE0EEEvSQ_
                                        ; -- End function
	.section	.AMDGPU.csdata,"",@progbits
; Kernel info:
; codeLenInByte = 0
; NumSgprs: 0
; NumVgprs: 0
; ScratchSize: 0
; MemoryBound: 0
; FloatMode: 240
; IeeeMode: 1
; LDSByteSize: 0 bytes/workgroup (compile time only)
; SGPRBlocks: 0
; VGPRBlocks: 0
; NumSGPRsForWavesPerEU: 1
; NumVGPRsForWavesPerEU: 1
; Occupancy: 16
; WaveLimiterHint : 0
; COMPUTE_PGM_RSRC2:SCRATCH_EN: 0
; COMPUTE_PGM_RSRC2:USER_SGPR: 15
; COMPUTE_PGM_RSRC2:TRAP_HANDLER: 0
; COMPUTE_PGM_RSRC2:TGID_X_EN: 1
; COMPUTE_PGM_RSRC2:TGID_Y_EN: 0
; COMPUTE_PGM_RSRC2:TGID_Z_EN: 0
; COMPUTE_PGM_RSRC2:TIDIG_COMP_CNT: 0
	.section	.text._ZN7rocprim17ROCPRIM_400000_NS6detail17trampoline_kernelINS0_14default_configENS1_27lower_bound_config_selectorIiiEEZNS1_14transform_implILb0ES3_S5_N6thrust23THRUST_200600_302600_NS17counting_iteratorIiNS8_11use_defaultESA_SA_EENS8_6detail15normal_iteratorINS8_10device_ptrIiEEEEZNS1_13binary_searchIS3_S5_SG_SB_SG_NS1_21lower_bound_search_opENSC_16wrapped_functionINS0_4lessIvEEbEEEE10hipError_tPvRmT1_T2_T3_mmT4_T5_P12ihipStream_tbEUlRKiE_EESN_SR_SS_mST_SW_bEUlT_E_NS1_11comp_targetILNS1_3genE5ELNS1_11target_archE942ELNS1_3gpuE9ELNS1_3repE0EEENS1_30default_config_static_selectorELNS0_4arch9wavefront6targetE0EEEvSQ_,"axG",@progbits,_ZN7rocprim17ROCPRIM_400000_NS6detail17trampoline_kernelINS0_14default_configENS1_27lower_bound_config_selectorIiiEEZNS1_14transform_implILb0ES3_S5_N6thrust23THRUST_200600_302600_NS17counting_iteratorIiNS8_11use_defaultESA_SA_EENS8_6detail15normal_iteratorINS8_10device_ptrIiEEEEZNS1_13binary_searchIS3_S5_SG_SB_SG_NS1_21lower_bound_search_opENSC_16wrapped_functionINS0_4lessIvEEbEEEE10hipError_tPvRmT1_T2_T3_mmT4_T5_P12ihipStream_tbEUlRKiE_EESN_SR_SS_mST_SW_bEUlT_E_NS1_11comp_targetILNS1_3genE5ELNS1_11target_archE942ELNS1_3gpuE9ELNS1_3repE0EEENS1_30default_config_static_selectorELNS0_4arch9wavefront6targetE0EEEvSQ_,comdat
	.protected	_ZN7rocprim17ROCPRIM_400000_NS6detail17trampoline_kernelINS0_14default_configENS1_27lower_bound_config_selectorIiiEEZNS1_14transform_implILb0ES3_S5_N6thrust23THRUST_200600_302600_NS17counting_iteratorIiNS8_11use_defaultESA_SA_EENS8_6detail15normal_iteratorINS8_10device_ptrIiEEEEZNS1_13binary_searchIS3_S5_SG_SB_SG_NS1_21lower_bound_search_opENSC_16wrapped_functionINS0_4lessIvEEbEEEE10hipError_tPvRmT1_T2_T3_mmT4_T5_P12ihipStream_tbEUlRKiE_EESN_SR_SS_mST_SW_bEUlT_E_NS1_11comp_targetILNS1_3genE5ELNS1_11target_archE942ELNS1_3gpuE9ELNS1_3repE0EEENS1_30default_config_static_selectorELNS0_4arch9wavefront6targetE0EEEvSQ_ ; -- Begin function _ZN7rocprim17ROCPRIM_400000_NS6detail17trampoline_kernelINS0_14default_configENS1_27lower_bound_config_selectorIiiEEZNS1_14transform_implILb0ES3_S5_N6thrust23THRUST_200600_302600_NS17counting_iteratorIiNS8_11use_defaultESA_SA_EENS8_6detail15normal_iteratorINS8_10device_ptrIiEEEEZNS1_13binary_searchIS3_S5_SG_SB_SG_NS1_21lower_bound_search_opENSC_16wrapped_functionINS0_4lessIvEEbEEEE10hipError_tPvRmT1_T2_T3_mmT4_T5_P12ihipStream_tbEUlRKiE_EESN_SR_SS_mST_SW_bEUlT_E_NS1_11comp_targetILNS1_3genE5ELNS1_11target_archE942ELNS1_3gpuE9ELNS1_3repE0EEENS1_30default_config_static_selectorELNS0_4arch9wavefront6targetE0EEEvSQ_
	.globl	_ZN7rocprim17ROCPRIM_400000_NS6detail17trampoline_kernelINS0_14default_configENS1_27lower_bound_config_selectorIiiEEZNS1_14transform_implILb0ES3_S5_N6thrust23THRUST_200600_302600_NS17counting_iteratorIiNS8_11use_defaultESA_SA_EENS8_6detail15normal_iteratorINS8_10device_ptrIiEEEEZNS1_13binary_searchIS3_S5_SG_SB_SG_NS1_21lower_bound_search_opENSC_16wrapped_functionINS0_4lessIvEEbEEEE10hipError_tPvRmT1_T2_T3_mmT4_T5_P12ihipStream_tbEUlRKiE_EESN_SR_SS_mST_SW_bEUlT_E_NS1_11comp_targetILNS1_3genE5ELNS1_11target_archE942ELNS1_3gpuE9ELNS1_3repE0EEENS1_30default_config_static_selectorELNS0_4arch9wavefront6targetE0EEEvSQ_
	.p2align	8
	.type	_ZN7rocprim17ROCPRIM_400000_NS6detail17trampoline_kernelINS0_14default_configENS1_27lower_bound_config_selectorIiiEEZNS1_14transform_implILb0ES3_S5_N6thrust23THRUST_200600_302600_NS17counting_iteratorIiNS8_11use_defaultESA_SA_EENS8_6detail15normal_iteratorINS8_10device_ptrIiEEEEZNS1_13binary_searchIS3_S5_SG_SB_SG_NS1_21lower_bound_search_opENSC_16wrapped_functionINS0_4lessIvEEbEEEE10hipError_tPvRmT1_T2_T3_mmT4_T5_P12ihipStream_tbEUlRKiE_EESN_SR_SS_mST_SW_bEUlT_E_NS1_11comp_targetILNS1_3genE5ELNS1_11target_archE942ELNS1_3gpuE9ELNS1_3repE0EEENS1_30default_config_static_selectorELNS0_4arch9wavefront6targetE0EEEvSQ_,@function
_ZN7rocprim17ROCPRIM_400000_NS6detail17trampoline_kernelINS0_14default_configENS1_27lower_bound_config_selectorIiiEEZNS1_14transform_implILb0ES3_S5_N6thrust23THRUST_200600_302600_NS17counting_iteratorIiNS8_11use_defaultESA_SA_EENS8_6detail15normal_iteratorINS8_10device_ptrIiEEEEZNS1_13binary_searchIS3_S5_SG_SB_SG_NS1_21lower_bound_search_opENSC_16wrapped_functionINS0_4lessIvEEbEEEE10hipError_tPvRmT1_T2_T3_mmT4_T5_P12ihipStream_tbEUlRKiE_EESN_SR_SS_mST_SW_bEUlT_E_NS1_11comp_targetILNS1_3genE5ELNS1_11target_archE942ELNS1_3gpuE9ELNS1_3repE0EEENS1_30default_config_static_selectorELNS0_4arch9wavefront6targetE0EEEvSQ_: ; @_ZN7rocprim17ROCPRIM_400000_NS6detail17trampoline_kernelINS0_14default_configENS1_27lower_bound_config_selectorIiiEEZNS1_14transform_implILb0ES3_S5_N6thrust23THRUST_200600_302600_NS17counting_iteratorIiNS8_11use_defaultESA_SA_EENS8_6detail15normal_iteratorINS8_10device_ptrIiEEEEZNS1_13binary_searchIS3_S5_SG_SB_SG_NS1_21lower_bound_search_opENSC_16wrapped_functionINS0_4lessIvEEbEEEE10hipError_tPvRmT1_T2_T3_mmT4_T5_P12ihipStream_tbEUlRKiE_EESN_SR_SS_mST_SW_bEUlT_E_NS1_11comp_targetILNS1_3genE5ELNS1_11target_archE942ELNS1_3gpuE9ELNS1_3repE0EEENS1_30default_config_static_selectorELNS0_4arch9wavefront6targetE0EEEvSQ_
; %bb.0:
	.section	.rodata,"a",@progbits
	.p2align	6, 0x0
	.amdhsa_kernel _ZN7rocprim17ROCPRIM_400000_NS6detail17trampoline_kernelINS0_14default_configENS1_27lower_bound_config_selectorIiiEEZNS1_14transform_implILb0ES3_S5_N6thrust23THRUST_200600_302600_NS17counting_iteratorIiNS8_11use_defaultESA_SA_EENS8_6detail15normal_iteratorINS8_10device_ptrIiEEEEZNS1_13binary_searchIS3_S5_SG_SB_SG_NS1_21lower_bound_search_opENSC_16wrapped_functionINS0_4lessIvEEbEEEE10hipError_tPvRmT1_T2_T3_mmT4_T5_P12ihipStream_tbEUlRKiE_EESN_SR_SS_mST_SW_bEUlT_E_NS1_11comp_targetILNS1_3genE5ELNS1_11target_archE942ELNS1_3gpuE9ELNS1_3repE0EEENS1_30default_config_static_selectorELNS0_4arch9wavefront6targetE0EEEvSQ_
		.amdhsa_group_segment_fixed_size 0
		.amdhsa_private_segment_fixed_size 0
		.amdhsa_kernarg_size 56
		.amdhsa_user_sgpr_count 15
		.amdhsa_user_sgpr_dispatch_ptr 0
		.amdhsa_user_sgpr_queue_ptr 0
		.amdhsa_user_sgpr_kernarg_segment_ptr 1
		.amdhsa_user_sgpr_dispatch_id 0
		.amdhsa_user_sgpr_private_segment_size 0
		.amdhsa_wavefront_size32 1
		.amdhsa_uses_dynamic_stack 0
		.amdhsa_enable_private_segment 0
		.amdhsa_system_sgpr_workgroup_id_x 1
		.amdhsa_system_sgpr_workgroup_id_y 0
		.amdhsa_system_sgpr_workgroup_id_z 0
		.amdhsa_system_sgpr_workgroup_info 0
		.amdhsa_system_vgpr_workitem_id 0
		.amdhsa_next_free_vgpr 1
		.amdhsa_next_free_sgpr 1
		.amdhsa_reserve_vcc 0
		.amdhsa_float_round_mode_32 0
		.amdhsa_float_round_mode_16_64 0
		.amdhsa_float_denorm_mode_32 3
		.amdhsa_float_denorm_mode_16_64 3
		.amdhsa_dx10_clamp 1
		.amdhsa_ieee_mode 1
		.amdhsa_fp16_overflow 0
		.amdhsa_workgroup_processor_mode 1
		.amdhsa_memory_ordered 1
		.amdhsa_forward_progress 0
		.amdhsa_shared_vgpr_count 0
		.amdhsa_exception_fp_ieee_invalid_op 0
		.amdhsa_exception_fp_denorm_src 0
		.amdhsa_exception_fp_ieee_div_zero 0
		.amdhsa_exception_fp_ieee_overflow 0
		.amdhsa_exception_fp_ieee_underflow 0
		.amdhsa_exception_fp_ieee_inexact 0
		.amdhsa_exception_int_div_zero 0
	.end_amdhsa_kernel
	.section	.text._ZN7rocprim17ROCPRIM_400000_NS6detail17trampoline_kernelINS0_14default_configENS1_27lower_bound_config_selectorIiiEEZNS1_14transform_implILb0ES3_S5_N6thrust23THRUST_200600_302600_NS17counting_iteratorIiNS8_11use_defaultESA_SA_EENS8_6detail15normal_iteratorINS8_10device_ptrIiEEEEZNS1_13binary_searchIS3_S5_SG_SB_SG_NS1_21lower_bound_search_opENSC_16wrapped_functionINS0_4lessIvEEbEEEE10hipError_tPvRmT1_T2_T3_mmT4_T5_P12ihipStream_tbEUlRKiE_EESN_SR_SS_mST_SW_bEUlT_E_NS1_11comp_targetILNS1_3genE5ELNS1_11target_archE942ELNS1_3gpuE9ELNS1_3repE0EEENS1_30default_config_static_selectorELNS0_4arch9wavefront6targetE0EEEvSQ_,"axG",@progbits,_ZN7rocprim17ROCPRIM_400000_NS6detail17trampoline_kernelINS0_14default_configENS1_27lower_bound_config_selectorIiiEEZNS1_14transform_implILb0ES3_S5_N6thrust23THRUST_200600_302600_NS17counting_iteratorIiNS8_11use_defaultESA_SA_EENS8_6detail15normal_iteratorINS8_10device_ptrIiEEEEZNS1_13binary_searchIS3_S5_SG_SB_SG_NS1_21lower_bound_search_opENSC_16wrapped_functionINS0_4lessIvEEbEEEE10hipError_tPvRmT1_T2_T3_mmT4_T5_P12ihipStream_tbEUlRKiE_EESN_SR_SS_mST_SW_bEUlT_E_NS1_11comp_targetILNS1_3genE5ELNS1_11target_archE942ELNS1_3gpuE9ELNS1_3repE0EEENS1_30default_config_static_selectorELNS0_4arch9wavefront6targetE0EEEvSQ_,comdat
.Lfunc_end87:
	.size	_ZN7rocprim17ROCPRIM_400000_NS6detail17trampoline_kernelINS0_14default_configENS1_27lower_bound_config_selectorIiiEEZNS1_14transform_implILb0ES3_S5_N6thrust23THRUST_200600_302600_NS17counting_iteratorIiNS8_11use_defaultESA_SA_EENS8_6detail15normal_iteratorINS8_10device_ptrIiEEEEZNS1_13binary_searchIS3_S5_SG_SB_SG_NS1_21lower_bound_search_opENSC_16wrapped_functionINS0_4lessIvEEbEEEE10hipError_tPvRmT1_T2_T3_mmT4_T5_P12ihipStream_tbEUlRKiE_EESN_SR_SS_mST_SW_bEUlT_E_NS1_11comp_targetILNS1_3genE5ELNS1_11target_archE942ELNS1_3gpuE9ELNS1_3repE0EEENS1_30default_config_static_selectorELNS0_4arch9wavefront6targetE0EEEvSQ_, .Lfunc_end87-_ZN7rocprim17ROCPRIM_400000_NS6detail17trampoline_kernelINS0_14default_configENS1_27lower_bound_config_selectorIiiEEZNS1_14transform_implILb0ES3_S5_N6thrust23THRUST_200600_302600_NS17counting_iteratorIiNS8_11use_defaultESA_SA_EENS8_6detail15normal_iteratorINS8_10device_ptrIiEEEEZNS1_13binary_searchIS3_S5_SG_SB_SG_NS1_21lower_bound_search_opENSC_16wrapped_functionINS0_4lessIvEEbEEEE10hipError_tPvRmT1_T2_T3_mmT4_T5_P12ihipStream_tbEUlRKiE_EESN_SR_SS_mST_SW_bEUlT_E_NS1_11comp_targetILNS1_3genE5ELNS1_11target_archE942ELNS1_3gpuE9ELNS1_3repE0EEENS1_30default_config_static_selectorELNS0_4arch9wavefront6targetE0EEEvSQ_
                                        ; -- End function
	.section	.AMDGPU.csdata,"",@progbits
; Kernel info:
; codeLenInByte = 0
; NumSgprs: 0
; NumVgprs: 0
; ScratchSize: 0
; MemoryBound: 0
; FloatMode: 240
; IeeeMode: 1
; LDSByteSize: 0 bytes/workgroup (compile time only)
; SGPRBlocks: 0
; VGPRBlocks: 0
; NumSGPRsForWavesPerEU: 1
; NumVGPRsForWavesPerEU: 1
; Occupancy: 16
; WaveLimiterHint : 0
; COMPUTE_PGM_RSRC2:SCRATCH_EN: 0
; COMPUTE_PGM_RSRC2:USER_SGPR: 15
; COMPUTE_PGM_RSRC2:TRAP_HANDLER: 0
; COMPUTE_PGM_RSRC2:TGID_X_EN: 1
; COMPUTE_PGM_RSRC2:TGID_Y_EN: 0
; COMPUTE_PGM_RSRC2:TGID_Z_EN: 0
; COMPUTE_PGM_RSRC2:TIDIG_COMP_CNT: 0
	.section	.text._ZN7rocprim17ROCPRIM_400000_NS6detail17trampoline_kernelINS0_14default_configENS1_27lower_bound_config_selectorIiiEEZNS1_14transform_implILb0ES3_S5_N6thrust23THRUST_200600_302600_NS17counting_iteratorIiNS8_11use_defaultESA_SA_EENS8_6detail15normal_iteratorINS8_10device_ptrIiEEEEZNS1_13binary_searchIS3_S5_SG_SB_SG_NS1_21lower_bound_search_opENSC_16wrapped_functionINS0_4lessIvEEbEEEE10hipError_tPvRmT1_T2_T3_mmT4_T5_P12ihipStream_tbEUlRKiE_EESN_SR_SS_mST_SW_bEUlT_E_NS1_11comp_targetILNS1_3genE4ELNS1_11target_archE910ELNS1_3gpuE8ELNS1_3repE0EEENS1_30default_config_static_selectorELNS0_4arch9wavefront6targetE0EEEvSQ_,"axG",@progbits,_ZN7rocprim17ROCPRIM_400000_NS6detail17trampoline_kernelINS0_14default_configENS1_27lower_bound_config_selectorIiiEEZNS1_14transform_implILb0ES3_S5_N6thrust23THRUST_200600_302600_NS17counting_iteratorIiNS8_11use_defaultESA_SA_EENS8_6detail15normal_iteratorINS8_10device_ptrIiEEEEZNS1_13binary_searchIS3_S5_SG_SB_SG_NS1_21lower_bound_search_opENSC_16wrapped_functionINS0_4lessIvEEbEEEE10hipError_tPvRmT1_T2_T3_mmT4_T5_P12ihipStream_tbEUlRKiE_EESN_SR_SS_mST_SW_bEUlT_E_NS1_11comp_targetILNS1_3genE4ELNS1_11target_archE910ELNS1_3gpuE8ELNS1_3repE0EEENS1_30default_config_static_selectorELNS0_4arch9wavefront6targetE0EEEvSQ_,comdat
	.protected	_ZN7rocprim17ROCPRIM_400000_NS6detail17trampoline_kernelINS0_14default_configENS1_27lower_bound_config_selectorIiiEEZNS1_14transform_implILb0ES3_S5_N6thrust23THRUST_200600_302600_NS17counting_iteratorIiNS8_11use_defaultESA_SA_EENS8_6detail15normal_iteratorINS8_10device_ptrIiEEEEZNS1_13binary_searchIS3_S5_SG_SB_SG_NS1_21lower_bound_search_opENSC_16wrapped_functionINS0_4lessIvEEbEEEE10hipError_tPvRmT1_T2_T3_mmT4_T5_P12ihipStream_tbEUlRKiE_EESN_SR_SS_mST_SW_bEUlT_E_NS1_11comp_targetILNS1_3genE4ELNS1_11target_archE910ELNS1_3gpuE8ELNS1_3repE0EEENS1_30default_config_static_selectorELNS0_4arch9wavefront6targetE0EEEvSQ_ ; -- Begin function _ZN7rocprim17ROCPRIM_400000_NS6detail17trampoline_kernelINS0_14default_configENS1_27lower_bound_config_selectorIiiEEZNS1_14transform_implILb0ES3_S5_N6thrust23THRUST_200600_302600_NS17counting_iteratorIiNS8_11use_defaultESA_SA_EENS8_6detail15normal_iteratorINS8_10device_ptrIiEEEEZNS1_13binary_searchIS3_S5_SG_SB_SG_NS1_21lower_bound_search_opENSC_16wrapped_functionINS0_4lessIvEEbEEEE10hipError_tPvRmT1_T2_T3_mmT4_T5_P12ihipStream_tbEUlRKiE_EESN_SR_SS_mST_SW_bEUlT_E_NS1_11comp_targetILNS1_3genE4ELNS1_11target_archE910ELNS1_3gpuE8ELNS1_3repE0EEENS1_30default_config_static_selectorELNS0_4arch9wavefront6targetE0EEEvSQ_
	.globl	_ZN7rocprim17ROCPRIM_400000_NS6detail17trampoline_kernelINS0_14default_configENS1_27lower_bound_config_selectorIiiEEZNS1_14transform_implILb0ES3_S5_N6thrust23THRUST_200600_302600_NS17counting_iteratorIiNS8_11use_defaultESA_SA_EENS8_6detail15normal_iteratorINS8_10device_ptrIiEEEEZNS1_13binary_searchIS3_S5_SG_SB_SG_NS1_21lower_bound_search_opENSC_16wrapped_functionINS0_4lessIvEEbEEEE10hipError_tPvRmT1_T2_T3_mmT4_T5_P12ihipStream_tbEUlRKiE_EESN_SR_SS_mST_SW_bEUlT_E_NS1_11comp_targetILNS1_3genE4ELNS1_11target_archE910ELNS1_3gpuE8ELNS1_3repE0EEENS1_30default_config_static_selectorELNS0_4arch9wavefront6targetE0EEEvSQ_
	.p2align	8
	.type	_ZN7rocprim17ROCPRIM_400000_NS6detail17trampoline_kernelINS0_14default_configENS1_27lower_bound_config_selectorIiiEEZNS1_14transform_implILb0ES3_S5_N6thrust23THRUST_200600_302600_NS17counting_iteratorIiNS8_11use_defaultESA_SA_EENS8_6detail15normal_iteratorINS8_10device_ptrIiEEEEZNS1_13binary_searchIS3_S5_SG_SB_SG_NS1_21lower_bound_search_opENSC_16wrapped_functionINS0_4lessIvEEbEEEE10hipError_tPvRmT1_T2_T3_mmT4_T5_P12ihipStream_tbEUlRKiE_EESN_SR_SS_mST_SW_bEUlT_E_NS1_11comp_targetILNS1_3genE4ELNS1_11target_archE910ELNS1_3gpuE8ELNS1_3repE0EEENS1_30default_config_static_selectorELNS0_4arch9wavefront6targetE0EEEvSQ_,@function
_ZN7rocprim17ROCPRIM_400000_NS6detail17trampoline_kernelINS0_14default_configENS1_27lower_bound_config_selectorIiiEEZNS1_14transform_implILb0ES3_S5_N6thrust23THRUST_200600_302600_NS17counting_iteratorIiNS8_11use_defaultESA_SA_EENS8_6detail15normal_iteratorINS8_10device_ptrIiEEEEZNS1_13binary_searchIS3_S5_SG_SB_SG_NS1_21lower_bound_search_opENSC_16wrapped_functionINS0_4lessIvEEbEEEE10hipError_tPvRmT1_T2_T3_mmT4_T5_P12ihipStream_tbEUlRKiE_EESN_SR_SS_mST_SW_bEUlT_E_NS1_11comp_targetILNS1_3genE4ELNS1_11target_archE910ELNS1_3gpuE8ELNS1_3repE0EEENS1_30default_config_static_selectorELNS0_4arch9wavefront6targetE0EEEvSQ_: ; @_ZN7rocprim17ROCPRIM_400000_NS6detail17trampoline_kernelINS0_14default_configENS1_27lower_bound_config_selectorIiiEEZNS1_14transform_implILb0ES3_S5_N6thrust23THRUST_200600_302600_NS17counting_iteratorIiNS8_11use_defaultESA_SA_EENS8_6detail15normal_iteratorINS8_10device_ptrIiEEEEZNS1_13binary_searchIS3_S5_SG_SB_SG_NS1_21lower_bound_search_opENSC_16wrapped_functionINS0_4lessIvEEbEEEE10hipError_tPvRmT1_T2_T3_mmT4_T5_P12ihipStream_tbEUlRKiE_EESN_SR_SS_mST_SW_bEUlT_E_NS1_11comp_targetILNS1_3genE4ELNS1_11target_archE910ELNS1_3gpuE8ELNS1_3repE0EEENS1_30default_config_static_selectorELNS0_4arch9wavefront6targetE0EEEvSQ_
; %bb.0:
	.section	.rodata,"a",@progbits
	.p2align	6, 0x0
	.amdhsa_kernel _ZN7rocprim17ROCPRIM_400000_NS6detail17trampoline_kernelINS0_14default_configENS1_27lower_bound_config_selectorIiiEEZNS1_14transform_implILb0ES3_S5_N6thrust23THRUST_200600_302600_NS17counting_iteratorIiNS8_11use_defaultESA_SA_EENS8_6detail15normal_iteratorINS8_10device_ptrIiEEEEZNS1_13binary_searchIS3_S5_SG_SB_SG_NS1_21lower_bound_search_opENSC_16wrapped_functionINS0_4lessIvEEbEEEE10hipError_tPvRmT1_T2_T3_mmT4_T5_P12ihipStream_tbEUlRKiE_EESN_SR_SS_mST_SW_bEUlT_E_NS1_11comp_targetILNS1_3genE4ELNS1_11target_archE910ELNS1_3gpuE8ELNS1_3repE0EEENS1_30default_config_static_selectorELNS0_4arch9wavefront6targetE0EEEvSQ_
		.amdhsa_group_segment_fixed_size 0
		.amdhsa_private_segment_fixed_size 0
		.amdhsa_kernarg_size 56
		.amdhsa_user_sgpr_count 15
		.amdhsa_user_sgpr_dispatch_ptr 0
		.amdhsa_user_sgpr_queue_ptr 0
		.amdhsa_user_sgpr_kernarg_segment_ptr 1
		.amdhsa_user_sgpr_dispatch_id 0
		.amdhsa_user_sgpr_private_segment_size 0
		.amdhsa_wavefront_size32 1
		.amdhsa_uses_dynamic_stack 0
		.amdhsa_enable_private_segment 0
		.amdhsa_system_sgpr_workgroup_id_x 1
		.amdhsa_system_sgpr_workgroup_id_y 0
		.amdhsa_system_sgpr_workgroup_id_z 0
		.amdhsa_system_sgpr_workgroup_info 0
		.amdhsa_system_vgpr_workitem_id 0
		.amdhsa_next_free_vgpr 1
		.amdhsa_next_free_sgpr 1
		.amdhsa_reserve_vcc 0
		.amdhsa_float_round_mode_32 0
		.amdhsa_float_round_mode_16_64 0
		.amdhsa_float_denorm_mode_32 3
		.amdhsa_float_denorm_mode_16_64 3
		.amdhsa_dx10_clamp 1
		.amdhsa_ieee_mode 1
		.amdhsa_fp16_overflow 0
		.amdhsa_workgroup_processor_mode 1
		.amdhsa_memory_ordered 1
		.amdhsa_forward_progress 0
		.amdhsa_shared_vgpr_count 0
		.amdhsa_exception_fp_ieee_invalid_op 0
		.amdhsa_exception_fp_denorm_src 0
		.amdhsa_exception_fp_ieee_div_zero 0
		.amdhsa_exception_fp_ieee_overflow 0
		.amdhsa_exception_fp_ieee_underflow 0
		.amdhsa_exception_fp_ieee_inexact 0
		.amdhsa_exception_int_div_zero 0
	.end_amdhsa_kernel
	.section	.text._ZN7rocprim17ROCPRIM_400000_NS6detail17trampoline_kernelINS0_14default_configENS1_27lower_bound_config_selectorIiiEEZNS1_14transform_implILb0ES3_S5_N6thrust23THRUST_200600_302600_NS17counting_iteratorIiNS8_11use_defaultESA_SA_EENS8_6detail15normal_iteratorINS8_10device_ptrIiEEEEZNS1_13binary_searchIS3_S5_SG_SB_SG_NS1_21lower_bound_search_opENSC_16wrapped_functionINS0_4lessIvEEbEEEE10hipError_tPvRmT1_T2_T3_mmT4_T5_P12ihipStream_tbEUlRKiE_EESN_SR_SS_mST_SW_bEUlT_E_NS1_11comp_targetILNS1_3genE4ELNS1_11target_archE910ELNS1_3gpuE8ELNS1_3repE0EEENS1_30default_config_static_selectorELNS0_4arch9wavefront6targetE0EEEvSQ_,"axG",@progbits,_ZN7rocprim17ROCPRIM_400000_NS6detail17trampoline_kernelINS0_14default_configENS1_27lower_bound_config_selectorIiiEEZNS1_14transform_implILb0ES3_S5_N6thrust23THRUST_200600_302600_NS17counting_iteratorIiNS8_11use_defaultESA_SA_EENS8_6detail15normal_iteratorINS8_10device_ptrIiEEEEZNS1_13binary_searchIS3_S5_SG_SB_SG_NS1_21lower_bound_search_opENSC_16wrapped_functionINS0_4lessIvEEbEEEE10hipError_tPvRmT1_T2_T3_mmT4_T5_P12ihipStream_tbEUlRKiE_EESN_SR_SS_mST_SW_bEUlT_E_NS1_11comp_targetILNS1_3genE4ELNS1_11target_archE910ELNS1_3gpuE8ELNS1_3repE0EEENS1_30default_config_static_selectorELNS0_4arch9wavefront6targetE0EEEvSQ_,comdat
.Lfunc_end88:
	.size	_ZN7rocprim17ROCPRIM_400000_NS6detail17trampoline_kernelINS0_14default_configENS1_27lower_bound_config_selectorIiiEEZNS1_14transform_implILb0ES3_S5_N6thrust23THRUST_200600_302600_NS17counting_iteratorIiNS8_11use_defaultESA_SA_EENS8_6detail15normal_iteratorINS8_10device_ptrIiEEEEZNS1_13binary_searchIS3_S5_SG_SB_SG_NS1_21lower_bound_search_opENSC_16wrapped_functionINS0_4lessIvEEbEEEE10hipError_tPvRmT1_T2_T3_mmT4_T5_P12ihipStream_tbEUlRKiE_EESN_SR_SS_mST_SW_bEUlT_E_NS1_11comp_targetILNS1_3genE4ELNS1_11target_archE910ELNS1_3gpuE8ELNS1_3repE0EEENS1_30default_config_static_selectorELNS0_4arch9wavefront6targetE0EEEvSQ_, .Lfunc_end88-_ZN7rocprim17ROCPRIM_400000_NS6detail17trampoline_kernelINS0_14default_configENS1_27lower_bound_config_selectorIiiEEZNS1_14transform_implILb0ES3_S5_N6thrust23THRUST_200600_302600_NS17counting_iteratorIiNS8_11use_defaultESA_SA_EENS8_6detail15normal_iteratorINS8_10device_ptrIiEEEEZNS1_13binary_searchIS3_S5_SG_SB_SG_NS1_21lower_bound_search_opENSC_16wrapped_functionINS0_4lessIvEEbEEEE10hipError_tPvRmT1_T2_T3_mmT4_T5_P12ihipStream_tbEUlRKiE_EESN_SR_SS_mST_SW_bEUlT_E_NS1_11comp_targetILNS1_3genE4ELNS1_11target_archE910ELNS1_3gpuE8ELNS1_3repE0EEENS1_30default_config_static_selectorELNS0_4arch9wavefront6targetE0EEEvSQ_
                                        ; -- End function
	.section	.AMDGPU.csdata,"",@progbits
; Kernel info:
; codeLenInByte = 0
; NumSgprs: 0
; NumVgprs: 0
; ScratchSize: 0
; MemoryBound: 0
; FloatMode: 240
; IeeeMode: 1
; LDSByteSize: 0 bytes/workgroup (compile time only)
; SGPRBlocks: 0
; VGPRBlocks: 0
; NumSGPRsForWavesPerEU: 1
; NumVGPRsForWavesPerEU: 1
; Occupancy: 16
; WaveLimiterHint : 0
; COMPUTE_PGM_RSRC2:SCRATCH_EN: 0
; COMPUTE_PGM_RSRC2:USER_SGPR: 15
; COMPUTE_PGM_RSRC2:TRAP_HANDLER: 0
; COMPUTE_PGM_RSRC2:TGID_X_EN: 1
; COMPUTE_PGM_RSRC2:TGID_Y_EN: 0
; COMPUTE_PGM_RSRC2:TGID_Z_EN: 0
; COMPUTE_PGM_RSRC2:TIDIG_COMP_CNT: 0
	.section	.text._ZN7rocprim17ROCPRIM_400000_NS6detail17trampoline_kernelINS0_14default_configENS1_27lower_bound_config_selectorIiiEEZNS1_14transform_implILb0ES3_S5_N6thrust23THRUST_200600_302600_NS17counting_iteratorIiNS8_11use_defaultESA_SA_EENS8_6detail15normal_iteratorINS8_10device_ptrIiEEEEZNS1_13binary_searchIS3_S5_SG_SB_SG_NS1_21lower_bound_search_opENSC_16wrapped_functionINS0_4lessIvEEbEEEE10hipError_tPvRmT1_T2_T3_mmT4_T5_P12ihipStream_tbEUlRKiE_EESN_SR_SS_mST_SW_bEUlT_E_NS1_11comp_targetILNS1_3genE3ELNS1_11target_archE908ELNS1_3gpuE7ELNS1_3repE0EEENS1_30default_config_static_selectorELNS0_4arch9wavefront6targetE0EEEvSQ_,"axG",@progbits,_ZN7rocprim17ROCPRIM_400000_NS6detail17trampoline_kernelINS0_14default_configENS1_27lower_bound_config_selectorIiiEEZNS1_14transform_implILb0ES3_S5_N6thrust23THRUST_200600_302600_NS17counting_iteratorIiNS8_11use_defaultESA_SA_EENS8_6detail15normal_iteratorINS8_10device_ptrIiEEEEZNS1_13binary_searchIS3_S5_SG_SB_SG_NS1_21lower_bound_search_opENSC_16wrapped_functionINS0_4lessIvEEbEEEE10hipError_tPvRmT1_T2_T3_mmT4_T5_P12ihipStream_tbEUlRKiE_EESN_SR_SS_mST_SW_bEUlT_E_NS1_11comp_targetILNS1_3genE3ELNS1_11target_archE908ELNS1_3gpuE7ELNS1_3repE0EEENS1_30default_config_static_selectorELNS0_4arch9wavefront6targetE0EEEvSQ_,comdat
	.protected	_ZN7rocprim17ROCPRIM_400000_NS6detail17trampoline_kernelINS0_14default_configENS1_27lower_bound_config_selectorIiiEEZNS1_14transform_implILb0ES3_S5_N6thrust23THRUST_200600_302600_NS17counting_iteratorIiNS8_11use_defaultESA_SA_EENS8_6detail15normal_iteratorINS8_10device_ptrIiEEEEZNS1_13binary_searchIS3_S5_SG_SB_SG_NS1_21lower_bound_search_opENSC_16wrapped_functionINS0_4lessIvEEbEEEE10hipError_tPvRmT1_T2_T3_mmT4_T5_P12ihipStream_tbEUlRKiE_EESN_SR_SS_mST_SW_bEUlT_E_NS1_11comp_targetILNS1_3genE3ELNS1_11target_archE908ELNS1_3gpuE7ELNS1_3repE0EEENS1_30default_config_static_selectorELNS0_4arch9wavefront6targetE0EEEvSQ_ ; -- Begin function _ZN7rocprim17ROCPRIM_400000_NS6detail17trampoline_kernelINS0_14default_configENS1_27lower_bound_config_selectorIiiEEZNS1_14transform_implILb0ES3_S5_N6thrust23THRUST_200600_302600_NS17counting_iteratorIiNS8_11use_defaultESA_SA_EENS8_6detail15normal_iteratorINS8_10device_ptrIiEEEEZNS1_13binary_searchIS3_S5_SG_SB_SG_NS1_21lower_bound_search_opENSC_16wrapped_functionINS0_4lessIvEEbEEEE10hipError_tPvRmT1_T2_T3_mmT4_T5_P12ihipStream_tbEUlRKiE_EESN_SR_SS_mST_SW_bEUlT_E_NS1_11comp_targetILNS1_3genE3ELNS1_11target_archE908ELNS1_3gpuE7ELNS1_3repE0EEENS1_30default_config_static_selectorELNS0_4arch9wavefront6targetE0EEEvSQ_
	.globl	_ZN7rocprim17ROCPRIM_400000_NS6detail17trampoline_kernelINS0_14default_configENS1_27lower_bound_config_selectorIiiEEZNS1_14transform_implILb0ES3_S5_N6thrust23THRUST_200600_302600_NS17counting_iteratorIiNS8_11use_defaultESA_SA_EENS8_6detail15normal_iteratorINS8_10device_ptrIiEEEEZNS1_13binary_searchIS3_S5_SG_SB_SG_NS1_21lower_bound_search_opENSC_16wrapped_functionINS0_4lessIvEEbEEEE10hipError_tPvRmT1_T2_T3_mmT4_T5_P12ihipStream_tbEUlRKiE_EESN_SR_SS_mST_SW_bEUlT_E_NS1_11comp_targetILNS1_3genE3ELNS1_11target_archE908ELNS1_3gpuE7ELNS1_3repE0EEENS1_30default_config_static_selectorELNS0_4arch9wavefront6targetE0EEEvSQ_
	.p2align	8
	.type	_ZN7rocprim17ROCPRIM_400000_NS6detail17trampoline_kernelINS0_14default_configENS1_27lower_bound_config_selectorIiiEEZNS1_14transform_implILb0ES3_S5_N6thrust23THRUST_200600_302600_NS17counting_iteratorIiNS8_11use_defaultESA_SA_EENS8_6detail15normal_iteratorINS8_10device_ptrIiEEEEZNS1_13binary_searchIS3_S5_SG_SB_SG_NS1_21lower_bound_search_opENSC_16wrapped_functionINS0_4lessIvEEbEEEE10hipError_tPvRmT1_T2_T3_mmT4_T5_P12ihipStream_tbEUlRKiE_EESN_SR_SS_mST_SW_bEUlT_E_NS1_11comp_targetILNS1_3genE3ELNS1_11target_archE908ELNS1_3gpuE7ELNS1_3repE0EEENS1_30default_config_static_selectorELNS0_4arch9wavefront6targetE0EEEvSQ_,@function
_ZN7rocprim17ROCPRIM_400000_NS6detail17trampoline_kernelINS0_14default_configENS1_27lower_bound_config_selectorIiiEEZNS1_14transform_implILb0ES3_S5_N6thrust23THRUST_200600_302600_NS17counting_iteratorIiNS8_11use_defaultESA_SA_EENS8_6detail15normal_iteratorINS8_10device_ptrIiEEEEZNS1_13binary_searchIS3_S5_SG_SB_SG_NS1_21lower_bound_search_opENSC_16wrapped_functionINS0_4lessIvEEbEEEE10hipError_tPvRmT1_T2_T3_mmT4_T5_P12ihipStream_tbEUlRKiE_EESN_SR_SS_mST_SW_bEUlT_E_NS1_11comp_targetILNS1_3genE3ELNS1_11target_archE908ELNS1_3gpuE7ELNS1_3repE0EEENS1_30default_config_static_selectorELNS0_4arch9wavefront6targetE0EEEvSQ_: ; @_ZN7rocprim17ROCPRIM_400000_NS6detail17trampoline_kernelINS0_14default_configENS1_27lower_bound_config_selectorIiiEEZNS1_14transform_implILb0ES3_S5_N6thrust23THRUST_200600_302600_NS17counting_iteratorIiNS8_11use_defaultESA_SA_EENS8_6detail15normal_iteratorINS8_10device_ptrIiEEEEZNS1_13binary_searchIS3_S5_SG_SB_SG_NS1_21lower_bound_search_opENSC_16wrapped_functionINS0_4lessIvEEbEEEE10hipError_tPvRmT1_T2_T3_mmT4_T5_P12ihipStream_tbEUlRKiE_EESN_SR_SS_mST_SW_bEUlT_E_NS1_11comp_targetILNS1_3genE3ELNS1_11target_archE908ELNS1_3gpuE7ELNS1_3repE0EEENS1_30default_config_static_selectorELNS0_4arch9wavefront6targetE0EEEvSQ_
; %bb.0:
	.section	.rodata,"a",@progbits
	.p2align	6, 0x0
	.amdhsa_kernel _ZN7rocprim17ROCPRIM_400000_NS6detail17trampoline_kernelINS0_14default_configENS1_27lower_bound_config_selectorIiiEEZNS1_14transform_implILb0ES3_S5_N6thrust23THRUST_200600_302600_NS17counting_iteratorIiNS8_11use_defaultESA_SA_EENS8_6detail15normal_iteratorINS8_10device_ptrIiEEEEZNS1_13binary_searchIS3_S5_SG_SB_SG_NS1_21lower_bound_search_opENSC_16wrapped_functionINS0_4lessIvEEbEEEE10hipError_tPvRmT1_T2_T3_mmT4_T5_P12ihipStream_tbEUlRKiE_EESN_SR_SS_mST_SW_bEUlT_E_NS1_11comp_targetILNS1_3genE3ELNS1_11target_archE908ELNS1_3gpuE7ELNS1_3repE0EEENS1_30default_config_static_selectorELNS0_4arch9wavefront6targetE0EEEvSQ_
		.amdhsa_group_segment_fixed_size 0
		.amdhsa_private_segment_fixed_size 0
		.amdhsa_kernarg_size 56
		.amdhsa_user_sgpr_count 15
		.amdhsa_user_sgpr_dispatch_ptr 0
		.amdhsa_user_sgpr_queue_ptr 0
		.amdhsa_user_sgpr_kernarg_segment_ptr 1
		.amdhsa_user_sgpr_dispatch_id 0
		.amdhsa_user_sgpr_private_segment_size 0
		.amdhsa_wavefront_size32 1
		.amdhsa_uses_dynamic_stack 0
		.amdhsa_enable_private_segment 0
		.amdhsa_system_sgpr_workgroup_id_x 1
		.amdhsa_system_sgpr_workgroup_id_y 0
		.amdhsa_system_sgpr_workgroup_id_z 0
		.amdhsa_system_sgpr_workgroup_info 0
		.amdhsa_system_vgpr_workitem_id 0
		.amdhsa_next_free_vgpr 1
		.amdhsa_next_free_sgpr 1
		.amdhsa_reserve_vcc 0
		.amdhsa_float_round_mode_32 0
		.amdhsa_float_round_mode_16_64 0
		.amdhsa_float_denorm_mode_32 3
		.amdhsa_float_denorm_mode_16_64 3
		.amdhsa_dx10_clamp 1
		.amdhsa_ieee_mode 1
		.amdhsa_fp16_overflow 0
		.amdhsa_workgroup_processor_mode 1
		.amdhsa_memory_ordered 1
		.amdhsa_forward_progress 0
		.amdhsa_shared_vgpr_count 0
		.amdhsa_exception_fp_ieee_invalid_op 0
		.amdhsa_exception_fp_denorm_src 0
		.amdhsa_exception_fp_ieee_div_zero 0
		.amdhsa_exception_fp_ieee_overflow 0
		.amdhsa_exception_fp_ieee_underflow 0
		.amdhsa_exception_fp_ieee_inexact 0
		.amdhsa_exception_int_div_zero 0
	.end_amdhsa_kernel
	.section	.text._ZN7rocprim17ROCPRIM_400000_NS6detail17trampoline_kernelINS0_14default_configENS1_27lower_bound_config_selectorIiiEEZNS1_14transform_implILb0ES3_S5_N6thrust23THRUST_200600_302600_NS17counting_iteratorIiNS8_11use_defaultESA_SA_EENS8_6detail15normal_iteratorINS8_10device_ptrIiEEEEZNS1_13binary_searchIS3_S5_SG_SB_SG_NS1_21lower_bound_search_opENSC_16wrapped_functionINS0_4lessIvEEbEEEE10hipError_tPvRmT1_T2_T3_mmT4_T5_P12ihipStream_tbEUlRKiE_EESN_SR_SS_mST_SW_bEUlT_E_NS1_11comp_targetILNS1_3genE3ELNS1_11target_archE908ELNS1_3gpuE7ELNS1_3repE0EEENS1_30default_config_static_selectorELNS0_4arch9wavefront6targetE0EEEvSQ_,"axG",@progbits,_ZN7rocprim17ROCPRIM_400000_NS6detail17trampoline_kernelINS0_14default_configENS1_27lower_bound_config_selectorIiiEEZNS1_14transform_implILb0ES3_S5_N6thrust23THRUST_200600_302600_NS17counting_iteratorIiNS8_11use_defaultESA_SA_EENS8_6detail15normal_iteratorINS8_10device_ptrIiEEEEZNS1_13binary_searchIS3_S5_SG_SB_SG_NS1_21lower_bound_search_opENSC_16wrapped_functionINS0_4lessIvEEbEEEE10hipError_tPvRmT1_T2_T3_mmT4_T5_P12ihipStream_tbEUlRKiE_EESN_SR_SS_mST_SW_bEUlT_E_NS1_11comp_targetILNS1_3genE3ELNS1_11target_archE908ELNS1_3gpuE7ELNS1_3repE0EEENS1_30default_config_static_selectorELNS0_4arch9wavefront6targetE0EEEvSQ_,comdat
.Lfunc_end89:
	.size	_ZN7rocprim17ROCPRIM_400000_NS6detail17trampoline_kernelINS0_14default_configENS1_27lower_bound_config_selectorIiiEEZNS1_14transform_implILb0ES3_S5_N6thrust23THRUST_200600_302600_NS17counting_iteratorIiNS8_11use_defaultESA_SA_EENS8_6detail15normal_iteratorINS8_10device_ptrIiEEEEZNS1_13binary_searchIS3_S5_SG_SB_SG_NS1_21lower_bound_search_opENSC_16wrapped_functionINS0_4lessIvEEbEEEE10hipError_tPvRmT1_T2_T3_mmT4_T5_P12ihipStream_tbEUlRKiE_EESN_SR_SS_mST_SW_bEUlT_E_NS1_11comp_targetILNS1_3genE3ELNS1_11target_archE908ELNS1_3gpuE7ELNS1_3repE0EEENS1_30default_config_static_selectorELNS0_4arch9wavefront6targetE0EEEvSQ_, .Lfunc_end89-_ZN7rocprim17ROCPRIM_400000_NS6detail17trampoline_kernelINS0_14default_configENS1_27lower_bound_config_selectorIiiEEZNS1_14transform_implILb0ES3_S5_N6thrust23THRUST_200600_302600_NS17counting_iteratorIiNS8_11use_defaultESA_SA_EENS8_6detail15normal_iteratorINS8_10device_ptrIiEEEEZNS1_13binary_searchIS3_S5_SG_SB_SG_NS1_21lower_bound_search_opENSC_16wrapped_functionINS0_4lessIvEEbEEEE10hipError_tPvRmT1_T2_T3_mmT4_T5_P12ihipStream_tbEUlRKiE_EESN_SR_SS_mST_SW_bEUlT_E_NS1_11comp_targetILNS1_3genE3ELNS1_11target_archE908ELNS1_3gpuE7ELNS1_3repE0EEENS1_30default_config_static_selectorELNS0_4arch9wavefront6targetE0EEEvSQ_
                                        ; -- End function
	.section	.AMDGPU.csdata,"",@progbits
; Kernel info:
; codeLenInByte = 0
; NumSgprs: 0
; NumVgprs: 0
; ScratchSize: 0
; MemoryBound: 0
; FloatMode: 240
; IeeeMode: 1
; LDSByteSize: 0 bytes/workgroup (compile time only)
; SGPRBlocks: 0
; VGPRBlocks: 0
; NumSGPRsForWavesPerEU: 1
; NumVGPRsForWavesPerEU: 1
; Occupancy: 16
; WaveLimiterHint : 0
; COMPUTE_PGM_RSRC2:SCRATCH_EN: 0
; COMPUTE_PGM_RSRC2:USER_SGPR: 15
; COMPUTE_PGM_RSRC2:TRAP_HANDLER: 0
; COMPUTE_PGM_RSRC2:TGID_X_EN: 1
; COMPUTE_PGM_RSRC2:TGID_Y_EN: 0
; COMPUTE_PGM_RSRC2:TGID_Z_EN: 0
; COMPUTE_PGM_RSRC2:TIDIG_COMP_CNT: 0
	.section	.text._ZN7rocprim17ROCPRIM_400000_NS6detail17trampoline_kernelINS0_14default_configENS1_27lower_bound_config_selectorIiiEEZNS1_14transform_implILb0ES3_S5_N6thrust23THRUST_200600_302600_NS17counting_iteratorIiNS8_11use_defaultESA_SA_EENS8_6detail15normal_iteratorINS8_10device_ptrIiEEEEZNS1_13binary_searchIS3_S5_SG_SB_SG_NS1_21lower_bound_search_opENSC_16wrapped_functionINS0_4lessIvEEbEEEE10hipError_tPvRmT1_T2_T3_mmT4_T5_P12ihipStream_tbEUlRKiE_EESN_SR_SS_mST_SW_bEUlT_E_NS1_11comp_targetILNS1_3genE2ELNS1_11target_archE906ELNS1_3gpuE6ELNS1_3repE0EEENS1_30default_config_static_selectorELNS0_4arch9wavefront6targetE0EEEvSQ_,"axG",@progbits,_ZN7rocprim17ROCPRIM_400000_NS6detail17trampoline_kernelINS0_14default_configENS1_27lower_bound_config_selectorIiiEEZNS1_14transform_implILb0ES3_S5_N6thrust23THRUST_200600_302600_NS17counting_iteratorIiNS8_11use_defaultESA_SA_EENS8_6detail15normal_iteratorINS8_10device_ptrIiEEEEZNS1_13binary_searchIS3_S5_SG_SB_SG_NS1_21lower_bound_search_opENSC_16wrapped_functionINS0_4lessIvEEbEEEE10hipError_tPvRmT1_T2_T3_mmT4_T5_P12ihipStream_tbEUlRKiE_EESN_SR_SS_mST_SW_bEUlT_E_NS1_11comp_targetILNS1_3genE2ELNS1_11target_archE906ELNS1_3gpuE6ELNS1_3repE0EEENS1_30default_config_static_selectorELNS0_4arch9wavefront6targetE0EEEvSQ_,comdat
	.protected	_ZN7rocprim17ROCPRIM_400000_NS6detail17trampoline_kernelINS0_14default_configENS1_27lower_bound_config_selectorIiiEEZNS1_14transform_implILb0ES3_S5_N6thrust23THRUST_200600_302600_NS17counting_iteratorIiNS8_11use_defaultESA_SA_EENS8_6detail15normal_iteratorINS8_10device_ptrIiEEEEZNS1_13binary_searchIS3_S5_SG_SB_SG_NS1_21lower_bound_search_opENSC_16wrapped_functionINS0_4lessIvEEbEEEE10hipError_tPvRmT1_T2_T3_mmT4_T5_P12ihipStream_tbEUlRKiE_EESN_SR_SS_mST_SW_bEUlT_E_NS1_11comp_targetILNS1_3genE2ELNS1_11target_archE906ELNS1_3gpuE6ELNS1_3repE0EEENS1_30default_config_static_selectorELNS0_4arch9wavefront6targetE0EEEvSQ_ ; -- Begin function _ZN7rocprim17ROCPRIM_400000_NS6detail17trampoline_kernelINS0_14default_configENS1_27lower_bound_config_selectorIiiEEZNS1_14transform_implILb0ES3_S5_N6thrust23THRUST_200600_302600_NS17counting_iteratorIiNS8_11use_defaultESA_SA_EENS8_6detail15normal_iteratorINS8_10device_ptrIiEEEEZNS1_13binary_searchIS3_S5_SG_SB_SG_NS1_21lower_bound_search_opENSC_16wrapped_functionINS0_4lessIvEEbEEEE10hipError_tPvRmT1_T2_T3_mmT4_T5_P12ihipStream_tbEUlRKiE_EESN_SR_SS_mST_SW_bEUlT_E_NS1_11comp_targetILNS1_3genE2ELNS1_11target_archE906ELNS1_3gpuE6ELNS1_3repE0EEENS1_30default_config_static_selectorELNS0_4arch9wavefront6targetE0EEEvSQ_
	.globl	_ZN7rocprim17ROCPRIM_400000_NS6detail17trampoline_kernelINS0_14default_configENS1_27lower_bound_config_selectorIiiEEZNS1_14transform_implILb0ES3_S5_N6thrust23THRUST_200600_302600_NS17counting_iteratorIiNS8_11use_defaultESA_SA_EENS8_6detail15normal_iteratorINS8_10device_ptrIiEEEEZNS1_13binary_searchIS3_S5_SG_SB_SG_NS1_21lower_bound_search_opENSC_16wrapped_functionINS0_4lessIvEEbEEEE10hipError_tPvRmT1_T2_T3_mmT4_T5_P12ihipStream_tbEUlRKiE_EESN_SR_SS_mST_SW_bEUlT_E_NS1_11comp_targetILNS1_3genE2ELNS1_11target_archE906ELNS1_3gpuE6ELNS1_3repE0EEENS1_30default_config_static_selectorELNS0_4arch9wavefront6targetE0EEEvSQ_
	.p2align	8
	.type	_ZN7rocprim17ROCPRIM_400000_NS6detail17trampoline_kernelINS0_14default_configENS1_27lower_bound_config_selectorIiiEEZNS1_14transform_implILb0ES3_S5_N6thrust23THRUST_200600_302600_NS17counting_iteratorIiNS8_11use_defaultESA_SA_EENS8_6detail15normal_iteratorINS8_10device_ptrIiEEEEZNS1_13binary_searchIS3_S5_SG_SB_SG_NS1_21lower_bound_search_opENSC_16wrapped_functionINS0_4lessIvEEbEEEE10hipError_tPvRmT1_T2_T3_mmT4_T5_P12ihipStream_tbEUlRKiE_EESN_SR_SS_mST_SW_bEUlT_E_NS1_11comp_targetILNS1_3genE2ELNS1_11target_archE906ELNS1_3gpuE6ELNS1_3repE0EEENS1_30default_config_static_selectorELNS0_4arch9wavefront6targetE0EEEvSQ_,@function
_ZN7rocprim17ROCPRIM_400000_NS6detail17trampoline_kernelINS0_14default_configENS1_27lower_bound_config_selectorIiiEEZNS1_14transform_implILb0ES3_S5_N6thrust23THRUST_200600_302600_NS17counting_iteratorIiNS8_11use_defaultESA_SA_EENS8_6detail15normal_iteratorINS8_10device_ptrIiEEEEZNS1_13binary_searchIS3_S5_SG_SB_SG_NS1_21lower_bound_search_opENSC_16wrapped_functionINS0_4lessIvEEbEEEE10hipError_tPvRmT1_T2_T3_mmT4_T5_P12ihipStream_tbEUlRKiE_EESN_SR_SS_mST_SW_bEUlT_E_NS1_11comp_targetILNS1_3genE2ELNS1_11target_archE906ELNS1_3gpuE6ELNS1_3repE0EEENS1_30default_config_static_selectorELNS0_4arch9wavefront6targetE0EEEvSQ_: ; @_ZN7rocprim17ROCPRIM_400000_NS6detail17trampoline_kernelINS0_14default_configENS1_27lower_bound_config_selectorIiiEEZNS1_14transform_implILb0ES3_S5_N6thrust23THRUST_200600_302600_NS17counting_iteratorIiNS8_11use_defaultESA_SA_EENS8_6detail15normal_iteratorINS8_10device_ptrIiEEEEZNS1_13binary_searchIS3_S5_SG_SB_SG_NS1_21lower_bound_search_opENSC_16wrapped_functionINS0_4lessIvEEbEEEE10hipError_tPvRmT1_T2_T3_mmT4_T5_P12ihipStream_tbEUlRKiE_EESN_SR_SS_mST_SW_bEUlT_E_NS1_11comp_targetILNS1_3genE2ELNS1_11target_archE906ELNS1_3gpuE6ELNS1_3repE0EEENS1_30default_config_static_selectorELNS0_4arch9wavefront6targetE0EEEvSQ_
; %bb.0:
	.section	.rodata,"a",@progbits
	.p2align	6, 0x0
	.amdhsa_kernel _ZN7rocprim17ROCPRIM_400000_NS6detail17trampoline_kernelINS0_14default_configENS1_27lower_bound_config_selectorIiiEEZNS1_14transform_implILb0ES3_S5_N6thrust23THRUST_200600_302600_NS17counting_iteratorIiNS8_11use_defaultESA_SA_EENS8_6detail15normal_iteratorINS8_10device_ptrIiEEEEZNS1_13binary_searchIS3_S5_SG_SB_SG_NS1_21lower_bound_search_opENSC_16wrapped_functionINS0_4lessIvEEbEEEE10hipError_tPvRmT1_T2_T3_mmT4_T5_P12ihipStream_tbEUlRKiE_EESN_SR_SS_mST_SW_bEUlT_E_NS1_11comp_targetILNS1_3genE2ELNS1_11target_archE906ELNS1_3gpuE6ELNS1_3repE0EEENS1_30default_config_static_selectorELNS0_4arch9wavefront6targetE0EEEvSQ_
		.amdhsa_group_segment_fixed_size 0
		.amdhsa_private_segment_fixed_size 0
		.amdhsa_kernarg_size 56
		.amdhsa_user_sgpr_count 15
		.amdhsa_user_sgpr_dispatch_ptr 0
		.amdhsa_user_sgpr_queue_ptr 0
		.amdhsa_user_sgpr_kernarg_segment_ptr 1
		.amdhsa_user_sgpr_dispatch_id 0
		.amdhsa_user_sgpr_private_segment_size 0
		.amdhsa_wavefront_size32 1
		.amdhsa_uses_dynamic_stack 0
		.amdhsa_enable_private_segment 0
		.amdhsa_system_sgpr_workgroup_id_x 1
		.amdhsa_system_sgpr_workgroup_id_y 0
		.amdhsa_system_sgpr_workgroup_id_z 0
		.amdhsa_system_sgpr_workgroup_info 0
		.amdhsa_system_vgpr_workitem_id 0
		.amdhsa_next_free_vgpr 1
		.amdhsa_next_free_sgpr 1
		.amdhsa_reserve_vcc 0
		.amdhsa_float_round_mode_32 0
		.amdhsa_float_round_mode_16_64 0
		.amdhsa_float_denorm_mode_32 3
		.amdhsa_float_denorm_mode_16_64 3
		.amdhsa_dx10_clamp 1
		.amdhsa_ieee_mode 1
		.amdhsa_fp16_overflow 0
		.amdhsa_workgroup_processor_mode 1
		.amdhsa_memory_ordered 1
		.amdhsa_forward_progress 0
		.amdhsa_shared_vgpr_count 0
		.amdhsa_exception_fp_ieee_invalid_op 0
		.amdhsa_exception_fp_denorm_src 0
		.amdhsa_exception_fp_ieee_div_zero 0
		.amdhsa_exception_fp_ieee_overflow 0
		.amdhsa_exception_fp_ieee_underflow 0
		.amdhsa_exception_fp_ieee_inexact 0
		.amdhsa_exception_int_div_zero 0
	.end_amdhsa_kernel
	.section	.text._ZN7rocprim17ROCPRIM_400000_NS6detail17trampoline_kernelINS0_14default_configENS1_27lower_bound_config_selectorIiiEEZNS1_14transform_implILb0ES3_S5_N6thrust23THRUST_200600_302600_NS17counting_iteratorIiNS8_11use_defaultESA_SA_EENS8_6detail15normal_iteratorINS8_10device_ptrIiEEEEZNS1_13binary_searchIS3_S5_SG_SB_SG_NS1_21lower_bound_search_opENSC_16wrapped_functionINS0_4lessIvEEbEEEE10hipError_tPvRmT1_T2_T3_mmT4_T5_P12ihipStream_tbEUlRKiE_EESN_SR_SS_mST_SW_bEUlT_E_NS1_11comp_targetILNS1_3genE2ELNS1_11target_archE906ELNS1_3gpuE6ELNS1_3repE0EEENS1_30default_config_static_selectorELNS0_4arch9wavefront6targetE0EEEvSQ_,"axG",@progbits,_ZN7rocprim17ROCPRIM_400000_NS6detail17trampoline_kernelINS0_14default_configENS1_27lower_bound_config_selectorIiiEEZNS1_14transform_implILb0ES3_S5_N6thrust23THRUST_200600_302600_NS17counting_iteratorIiNS8_11use_defaultESA_SA_EENS8_6detail15normal_iteratorINS8_10device_ptrIiEEEEZNS1_13binary_searchIS3_S5_SG_SB_SG_NS1_21lower_bound_search_opENSC_16wrapped_functionINS0_4lessIvEEbEEEE10hipError_tPvRmT1_T2_T3_mmT4_T5_P12ihipStream_tbEUlRKiE_EESN_SR_SS_mST_SW_bEUlT_E_NS1_11comp_targetILNS1_3genE2ELNS1_11target_archE906ELNS1_3gpuE6ELNS1_3repE0EEENS1_30default_config_static_selectorELNS0_4arch9wavefront6targetE0EEEvSQ_,comdat
.Lfunc_end90:
	.size	_ZN7rocprim17ROCPRIM_400000_NS6detail17trampoline_kernelINS0_14default_configENS1_27lower_bound_config_selectorIiiEEZNS1_14transform_implILb0ES3_S5_N6thrust23THRUST_200600_302600_NS17counting_iteratorIiNS8_11use_defaultESA_SA_EENS8_6detail15normal_iteratorINS8_10device_ptrIiEEEEZNS1_13binary_searchIS3_S5_SG_SB_SG_NS1_21lower_bound_search_opENSC_16wrapped_functionINS0_4lessIvEEbEEEE10hipError_tPvRmT1_T2_T3_mmT4_T5_P12ihipStream_tbEUlRKiE_EESN_SR_SS_mST_SW_bEUlT_E_NS1_11comp_targetILNS1_3genE2ELNS1_11target_archE906ELNS1_3gpuE6ELNS1_3repE0EEENS1_30default_config_static_selectorELNS0_4arch9wavefront6targetE0EEEvSQ_, .Lfunc_end90-_ZN7rocprim17ROCPRIM_400000_NS6detail17trampoline_kernelINS0_14default_configENS1_27lower_bound_config_selectorIiiEEZNS1_14transform_implILb0ES3_S5_N6thrust23THRUST_200600_302600_NS17counting_iteratorIiNS8_11use_defaultESA_SA_EENS8_6detail15normal_iteratorINS8_10device_ptrIiEEEEZNS1_13binary_searchIS3_S5_SG_SB_SG_NS1_21lower_bound_search_opENSC_16wrapped_functionINS0_4lessIvEEbEEEE10hipError_tPvRmT1_T2_T3_mmT4_T5_P12ihipStream_tbEUlRKiE_EESN_SR_SS_mST_SW_bEUlT_E_NS1_11comp_targetILNS1_3genE2ELNS1_11target_archE906ELNS1_3gpuE6ELNS1_3repE0EEENS1_30default_config_static_selectorELNS0_4arch9wavefront6targetE0EEEvSQ_
                                        ; -- End function
	.section	.AMDGPU.csdata,"",@progbits
; Kernel info:
; codeLenInByte = 0
; NumSgprs: 0
; NumVgprs: 0
; ScratchSize: 0
; MemoryBound: 0
; FloatMode: 240
; IeeeMode: 1
; LDSByteSize: 0 bytes/workgroup (compile time only)
; SGPRBlocks: 0
; VGPRBlocks: 0
; NumSGPRsForWavesPerEU: 1
; NumVGPRsForWavesPerEU: 1
; Occupancy: 16
; WaveLimiterHint : 0
; COMPUTE_PGM_RSRC2:SCRATCH_EN: 0
; COMPUTE_PGM_RSRC2:USER_SGPR: 15
; COMPUTE_PGM_RSRC2:TRAP_HANDLER: 0
; COMPUTE_PGM_RSRC2:TGID_X_EN: 1
; COMPUTE_PGM_RSRC2:TGID_Y_EN: 0
; COMPUTE_PGM_RSRC2:TGID_Z_EN: 0
; COMPUTE_PGM_RSRC2:TIDIG_COMP_CNT: 0
	.section	.text._ZN7rocprim17ROCPRIM_400000_NS6detail17trampoline_kernelINS0_14default_configENS1_27lower_bound_config_selectorIiiEEZNS1_14transform_implILb0ES3_S5_N6thrust23THRUST_200600_302600_NS17counting_iteratorIiNS8_11use_defaultESA_SA_EENS8_6detail15normal_iteratorINS8_10device_ptrIiEEEEZNS1_13binary_searchIS3_S5_SG_SB_SG_NS1_21lower_bound_search_opENSC_16wrapped_functionINS0_4lessIvEEbEEEE10hipError_tPvRmT1_T2_T3_mmT4_T5_P12ihipStream_tbEUlRKiE_EESN_SR_SS_mST_SW_bEUlT_E_NS1_11comp_targetILNS1_3genE10ELNS1_11target_archE1201ELNS1_3gpuE5ELNS1_3repE0EEENS1_30default_config_static_selectorELNS0_4arch9wavefront6targetE0EEEvSQ_,"axG",@progbits,_ZN7rocprim17ROCPRIM_400000_NS6detail17trampoline_kernelINS0_14default_configENS1_27lower_bound_config_selectorIiiEEZNS1_14transform_implILb0ES3_S5_N6thrust23THRUST_200600_302600_NS17counting_iteratorIiNS8_11use_defaultESA_SA_EENS8_6detail15normal_iteratorINS8_10device_ptrIiEEEEZNS1_13binary_searchIS3_S5_SG_SB_SG_NS1_21lower_bound_search_opENSC_16wrapped_functionINS0_4lessIvEEbEEEE10hipError_tPvRmT1_T2_T3_mmT4_T5_P12ihipStream_tbEUlRKiE_EESN_SR_SS_mST_SW_bEUlT_E_NS1_11comp_targetILNS1_3genE10ELNS1_11target_archE1201ELNS1_3gpuE5ELNS1_3repE0EEENS1_30default_config_static_selectorELNS0_4arch9wavefront6targetE0EEEvSQ_,comdat
	.protected	_ZN7rocprim17ROCPRIM_400000_NS6detail17trampoline_kernelINS0_14default_configENS1_27lower_bound_config_selectorIiiEEZNS1_14transform_implILb0ES3_S5_N6thrust23THRUST_200600_302600_NS17counting_iteratorIiNS8_11use_defaultESA_SA_EENS8_6detail15normal_iteratorINS8_10device_ptrIiEEEEZNS1_13binary_searchIS3_S5_SG_SB_SG_NS1_21lower_bound_search_opENSC_16wrapped_functionINS0_4lessIvEEbEEEE10hipError_tPvRmT1_T2_T3_mmT4_T5_P12ihipStream_tbEUlRKiE_EESN_SR_SS_mST_SW_bEUlT_E_NS1_11comp_targetILNS1_3genE10ELNS1_11target_archE1201ELNS1_3gpuE5ELNS1_3repE0EEENS1_30default_config_static_selectorELNS0_4arch9wavefront6targetE0EEEvSQ_ ; -- Begin function _ZN7rocprim17ROCPRIM_400000_NS6detail17trampoline_kernelINS0_14default_configENS1_27lower_bound_config_selectorIiiEEZNS1_14transform_implILb0ES3_S5_N6thrust23THRUST_200600_302600_NS17counting_iteratorIiNS8_11use_defaultESA_SA_EENS8_6detail15normal_iteratorINS8_10device_ptrIiEEEEZNS1_13binary_searchIS3_S5_SG_SB_SG_NS1_21lower_bound_search_opENSC_16wrapped_functionINS0_4lessIvEEbEEEE10hipError_tPvRmT1_T2_T3_mmT4_T5_P12ihipStream_tbEUlRKiE_EESN_SR_SS_mST_SW_bEUlT_E_NS1_11comp_targetILNS1_3genE10ELNS1_11target_archE1201ELNS1_3gpuE5ELNS1_3repE0EEENS1_30default_config_static_selectorELNS0_4arch9wavefront6targetE0EEEvSQ_
	.globl	_ZN7rocprim17ROCPRIM_400000_NS6detail17trampoline_kernelINS0_14default_configENS1_27lower_bound_config_selectorIiiEEZNS1_14transform_implILb0ES3_S5_N6thrust23THRUST_200600_302600_NS17counting_iteratorIiNS8_11use_defaultESA_SA_EENS8_6detail15normal_iteratorINS8_10device_ptrIiEEEEZNS1_13binary_searchIS3_S5_SG_SB_SG_NS1_21lower_bound_search_opENSC_16wrapped_functionINS0_4lessIvEEbEEEE10hipError_tPvRmT1_T2_T3_mmT4_T5_P12ihipStream_tbEUlRKiE_EESN_SR_SS_mST_SW_bEUlT_E_NS1_11comp_targetILNS1_3genE10ELNS1_11target_archE1201ELNS1_3gpuE5ELNS1_3repE0EEENS1_30default_config_static_selectorELNS0_4arch9wavefront6targetE0EEEvSQ_
	.p2align	8
	.type	_ZN7rocprim17ROCPRIM_400000_NS6detail17trampoline_kernelINS0_14default_configENS1_27lower_bound_config_selectorIiiEEZNS1_14transform_implILb0ES3_S5_N6thrust23THRUST_200600_302600_NS17counting_iteratorIiNS8_11use_defaultESA_SA_EENS8_6detail15normal_iteratorINS8_10device_ptrIiEEEEZNS1_13binary_searchIS3_S5_SG_SB_SG_NS1_21lower_bound_search_opENSC_16wrapped_functionINS0_4lessIvEEbEEEE10hipError_tPvRmT1_T2_T3_mmT4_T5_P12ihipStream_tbEUlRKiE_EESN_SR_SS_mST_SW_bEUlT_E_NS1_11comp_targetILNS1_3genE10ELNS1_11target_archE1201ELNS1_3gpuE5ELNS1_3repE0EEENS1_30default_config_static_selectorELNS0_4arch9wavefront6targetE0EEEvSQ_,@function
_ZN7rocprim17ROCPRIM_400000_NS6detail17trampoline_kernelINS0_14default_configENS1_27lower_bound_config_selectorIiiEEZNS1_14transform_implILb0ES3_S5_N6thrust23THRUST_200600_302600_NS17counting_iteratorIiNS8_11use_defaultESA_SA_EENS8_6detail15normal_iteratorINS8_10device_ptrIiEEEEZNS1_13binary_searchIS3_S5_SG_SB_SG_NS1_21lower_bound_search_opENSC_16wrapped_functionINS0_4lessIvEEbEEEE10hipError_tPvRmT1_T2_T3_mmT4_T5_P12ihipStream_tbEUlRKiE_EESN_SR_SS_mST_SW_bEUlT_E_NS1_11comp_targetILNS1_3genE10ELNS1_11target_archE1201ELNS1_3gpuE5ELNS1_3repE0EEENS1_30default_config_static_selectorELNS0_4arch9wavefront6targetE0EEEvSQ_: ; @_ZN7rocprim17ROCPRIM_400000_NS6detail17trampoline_kernelINS0_14default_configENS1_27lower_bound_config_selectorIiiEEZNS1_14transform_implILb0ES3_S5_N6thrust23THRUST_200600_302600_NS17counting_iteratorIiNS8_11use_defaultESA_SA_EENS8_6detail15normal_iteratorINS8_10device_ptrIiEEEEZNS1_13binary_searchIS3_S5_SG_SB_SG_NS1_21lower_bound_search_opENSC_16wrapped_functionINS0_4lessIvEEbEEEE10hipError_tPvRmT1_T2_T3_mmT4_T5_P12ihipStream_tbEUlRKiE_EESN_SR_SS_mST_SW_bEUlT_E_NS1_11comp_targetILNS1_3genE10ELNS1_11target_archE1201ELNS1_3gpuE5ELNS1_3repE0EEENS1_30default_config_static_selectorELNS0_4arch9wavefront6targetE0EEEvSQ_
; %bb.0:
	.section	.rodata,"a",@progbits
	.p2align	6, 0x0
	.amdhsa_kernel _ZN7rocprim17ROCPRIM_400000_NS6detail17trampoline_kernelINS0_14default_configENS1_27lower_bound_config_selectorIiiEEZNS1_14transform_implILb0ES3_S5_N6thrust23THRUST_200600_302600_NS17counting_iteratorIiNS8_11use_defaultESA_SA_EENS8_6detail15normal_iteratorINS8_10device_ptrIiEEEEZNS1_13binary_searchIS3_S5_SG_SB_SG_NS1_21lower_bound_search_opENSC_16wrapped_functionINS0_4lessIvEEbEEEE10hipError_tPvRmT1_T2_T3_mmT4_T5_P12ihipStream_tbEUlRKiE_EESN_SR_SS_mST_SW_bEUlT_E_NS1_11comp_targetILNS1_3genE10ELNS1_11target_archE1201ELNS1_3gpuE5ELNS1_3repE0EEENS1_30default_config_static_selectorELNS0_4arch9wavefront6targetE0EEEvSQ_
		.amdhsa_group_segment_fixed_size 0
		.amdhsa_private_segment_fixed_size 0
		.amdhsa_kernarg_size 56
		.amdhsa_user_sgpr_count 15
		.amdhsa_user_sgpr_dispatch_ptr 0
		.amdhsa_user_sgpr_queue_ptr 0
		.amdhsa_user_sgpr_kernarg_segment_ptr 1
		.amdhsa_user_sgpr_dispatch_id 0
		.amdhsa_user_sgpr_private_segment_size 0
		.amdhsa_wavefront_size32 1
		.amdhsa_uses_dynamic_stack 0
		.amdhsa_enable_private_segment 0
		.amdhsa_system_sgpr_workgroup_id_x 1
		.amdhsa_system_sgpr_workgroup_id_y 0
		.amdhsa_system_sgpr_workgroup_id_z 0
		.amdhsa_system_sgpr_workgroup_info 0
		.amdhsa_system_vgpr_workitem_id 0
		.amdhsa_next_free_vgpr 1
		.amdhsa_next_free_sgpr 1
		.amdhsa_reserve_vcc 0
		.amdhsa_float_round_mode_32 0
		.amdhsa_float_round_mode_16_64 0
		.amdhsa_float_denorm_mode_32 3
		.amdhsa_float_denorm_mode_16_64 3
		.amdhsa_dx10_clamp 1
		.amdhsa_ieee_mode 1
		.amdhsa_fp16_overflow 0
		.amdhsa_workgroup_processor_mode 1
		.amdhsa_memory_ordered 1
		.amdhsa_forward_progress 0
		.amdhsa_shared_vgpr_count 0
		.amdhsa_exception_fp_ieee_invalid_op 0
		.amdhsa_exception_fp_denorm_src 0
		.amdhsa_exception_fp_ieee_div_zero 0
		.amdhsa_exception_fp_ieee_overflow 0
		.amdhsa_exception_fp_ieee_underflow 0
		.amdhsa_exception_fp_ieee_inexact 0
		.amdhsa_exception_int_div_zero 0
	.end_amdhsa_kernel
	.section	.text._ZN7rocprim17ROCPRIM_400000_NS6detail17trampoline_kernelINS0_14default_configENS1_27lower_bound_config_selectorIiiEEZNS1_14transform_implILb0ES3_S5_N6thrust23THRUST_200600_302600_NS17counting_iteratorIiNS8_11use_defaultESA_SA_EENS8_6detail15normal_iteratorINS8_10device_ptrIiEEEEZNS1_13binary_searchIS3_S5_SG_SB_SG_NS1_21lower_bound_search_opENSC_16wrapped_functionINS0_4lessIvEEbEEEE10hipError_tPvRmT1_T2_T3_mmT4_T5_P12ihipStream_tbEUlRKiE_EESN_SR_SS_mST_SW_bEUlT_E_NS1_11comp_targetILNS1_3genE10ELNS1_11target_archE1201ELNS1_3gpuE5ELNS1_3repE0EEENS1_30default_config_static_selectorELNS0_4arch9wavefront6targetE0EEEvSQ_,"axG",@progbits,_ZN7rocprim17ROCPRIM_400000_NS6detail17trampoline_kernelINS0_14default_configENS1_27lower_bound_config_selectorIiiEEZNS1_14transform_implILb0ES3_S5_N6thrust23THRUST_200600_302600_NS17counting_iteratorIiNS8_11use_defaultESA_SA_EENS8_6detail15normal_iteratorINS8_10device_ptrIiEEEEZNS1_13binary_searchIS3_S5_SG_SB_SG_NS1_21lower_bound_search_opENSC_16wrapped_functionINS0_4lessIvEEbEEEE10hipError_tPvRmT1_T2_T3_mmT4_T5_P12ihipStream_tbEUlRKiE_EESN_SR_SS_mST_SW_bEUlT_E_NS1_11comp_targetILNS1_3genE10ELNS1_11target_archE1201ELNS1_3gpuE5ELNS1_3repE0EEENS1_30default_config_static_selectorELNS0_4arch9wavefront6targetE0EEEvSQ_,comdat
.Lfunc_end91:
	.size	_ZN7rocprim17ROCPRIM_400000_NS6detail17trampoline_kernelINS0_14default_configENS1_27lower_bound_config_selectorIiiEEZNS1_14transform_implILb0ES3_S5_N6thrust23THRUST_200600_302600_NS17counting_iteratorIiNS8_11use_defaultESA_SA_EENS8_6detail15normal_iteratorINS8_10device_ptrIiEEEEZNS1_13binary_searchIS3_S5_SG_SB_SG_NS1_21lower_bound_search_opENSC_16wrapped_functionINS0_4lessIvEEbEEEE10hipError_tPvRmT1_T2_T3_mmT4_T5_P12ihipStream_tbEUlRKiE_EESN_SR_SS_mST_SW_bEUlT_E_NS1_11comp_targetILNS1_3genE10ELNS1_11target_archE1201ELNS1_3gpuE5ELNS1_3repE0EEENS1_30default_config_static_selectorELNS0_4arch9wavefront6targetE0EEEvSQ_, .Lfunc_end91-_ZN7rocprim17ROCPRIM_400000_NS6detail17trampoline_kernelINS0_14default_configENS1_27lower_bound_config_selectorIiiEEZNS1_14transform_implILb0ES3_S5_N6thrust23THRUST_200600_302600_NS17counting_iteratorIiNS8_11use_defaultESA_SA_EENS8_6detail15normal_iteratorINS8_10device_ptrIiEEEEZNS1_13binary_searchIS3_S5_SG_SB_SG_NS1_21lower_bound_search_opENSC_16wrapped_functionINS0_4lessIvEEbEEEE10hipError_tPvRmT1_T2_T3_mmT4_T5_P12ihipStream_tbEUlRKiE_EESN_SR_SS_mST_SW_bEUlT_E_NS1_11comp_targetILNS1_3genE10ELNS1_11target_archE1201ELNS1_3gpuE5ELNS1_3repE0EEENS1_30default_config_static_selectorELNS0_4arch9wavefront6targetE0EEEvSQ_
                                        ; -- End function
	.section	.AMDGPU.csdata,"",@progbits
; Kernel info:
; codeLenInByte = 0
; NumSgprs: 0
; NumVgprs: 0
; ScratchSize: 0
; MemoryBound: 0
; FloatMode: 240
; IeeeMode: 1
; LDSByteSize: 0 bytes/workgroup (compile time only)
; SGPRBlocks: 0
; VGPRBlocks: 0
; NumSGPRsForWavesPerEU: 1
; NumVGPRsForWavesPerEU: 1
; Occupancy: 16
; WaveLimiterHint : 0
; COMPUTE_PGM_RSRC2:SCRATCH_EN: 0
; COMPUTE_PGM_RSRC2:USER_SGPR: 15
; COMPUTE_PGM_RSRC2:TRAP_HANDLER: 0
; COMPUTE_PGM_RSRC2:TGID_X_EN: 1
; COMPUTE_PGM_RSRC2:TGID_Y_EN: 0
; COMPUTE_PGM_RSRC2:TGID_Z_EN: 0
; COMPUTE_PGM_RSRC2:TIDIG_COMP_CNT: 0
	.section	.text._ZN7rocprim17ROCPRIM_400000_NS6detail17trampoline_kernelINS0_14default_configENS1_27lower_bound_config_selectorIiiEEZNS1_14transform_implILb0ES3_S5_N6thrust23THRUST_200600_302600_NS17counting_iteratorIiNS8_11use_defaultESA_SA_EENS8_6detail15normal_iteratorINS8_10device_ptrIiEEEEZNS1_13binary_searchIS3_S5_SG_SB_SG_NS1_21lower_bound_search_opENSC_16wrapped_functionINS0_4lessIvEEbEEEE10hipError_tPvRmT1_T2_T3_mmT4_T5_P12ihipStream_tbEUlRKiE_EESN_SR_SS_mST_SW_bEUlT_E_NS1_11comp_targetILNS1_3genE10ELNS1_11target_archE1200ELNS1_3gpuE4ELNS1_3repE0EEENS1_30default_config_static_selectorELNS0_4arch9wavefront6targetE0EEEvSQ_,"axG",@progbits,_ZN7rocprim17ROCPRIM_400000_NS6detail17trampoline_kernelINS0_14default_configENS1_27lower_bound_config_selectorIiiEEZNS1_14transform_implILb0ES3_S5_N6thrust23THRUST_200600_302600_NS17counting_iteratorIiNS8_11use_defaultESA_SA_EENS8_6detail15normal_iteratorINS8_10device_ptrIiEEEEZNS1_13binary_searchIS3_S5_SG_SB_SG_NS1_21lower_bound_search_opENSC_16wrapped_functionINS0_4lessIvEEbEEEE10hipError_tPvRmT1_T2_T3_mmT4_T5_P12ihipStream_tbEUlRKiE_EESN_SR_SS_mST_SW_bEUlT_E_NS1_11comp_targetILNS1_3genE10ELNS1_11target_archE1200ELNS1_3gpuE4ELNS1_3repE0EEENS1_30default_config_static_selectorELNS0_4arch9wavefront6targetE0EEEvSQ_,comdat
	.protected	_ZN7rocprim17ROCPRIM_400000_NS6detail17trampoline_kernelINS0_14default_configENS1_27lower_bound_config_selectorIiiEEZNS1_14transform_implILb0ES3_S5_N6thrust23THRUST_200600_302600_NS17counting_iteratorIiNS8_11use_defaultESA_SA_EENS8_6detail15normal_iteratorINS8_10device_ptrIiEEEEZNS1_13binary_searchIS3_S5_SG_SB_SG_NS1_21lower_bound_search_opENSC_16wrapped_functionINS0_4lessIvEEbEEEE10hipError_tPvRmT1_T2_T3_mmT4_T5_P12ihipStream_tbEUlRKiE_EESN_SR_SS_mST_SW_bEUlT_E_NS1_11comp_targetILNS1_3genE10ELNS1_11target_archE1200ELNS1_3gpuE4ELNS1_3repE0EEENS1_30default_config_static_selectorELNS0_4arch9wavefront6targetE0EEEvSQ_ ; -- Begin function _ZN7rocprim17ROCPRIM_400000_NS6detail17trampoline_kernelINS0_14default_configENS1_27lower_bound_config_selectorIiiEEZNS1_14transform_implILb0ES3_S5_N6thrust23THRUST_200600_302600_NS17counting_iteratorIiNS8_11use_defaultESA_SA_EENS8_6detail15normal_iteratorINS8_10device_ptrIiEEEEZNS1_13binary_searchIS3_S5_SG_SB_SG_NS1_21lower_bound_search_opENSC_16wrapped_functionINS0_4lessIvEEbEEEE10hipError_tPvRmT1_T2_T3_mmT4_T5_P12ihipStream_tbEUlRKiE_EESN_SR_SS_mST_SW_bEUlT_E_NS1_11comp_targetILNS1_3genE10ELNS1_11target_archE1200ELNS1_3gpuE4ELNS1_3repE0EEENS1_30default_config_static_selectorELNS0_4arch9wavefront6targetE0EEEvSQ_
	.globl	_ZN7rocprim17ROCPRIM_400000_NS6detail17trampoline_kernelINS0_14default_configENS1_27lower_bound_config_selectorIiiEEZNS1_14transform_implILb0ES3_S5_N6thrust23THRUST_200600_302600_NS17counting_iteratorIiNS8_11use_defaultESA_SA_EENS8_6detail15normal_iteratorINS8_10device_ptrIiEEEEZNS1_13binary_searchIS3_S5_SG_SB_SG_NS1_21lower_bound_search_opENSC_16wrapped_functionINS0_4lessIvEEbEEEE10hipError_tPvRmT1_T2_T3_mmT4_T5_P12ihipStream_tbEUlRKiE_EESN_SR_SS_mST_SW_bEUlT_E_NS1_11comp_targetILNS1_3genE10ELNS1_11target_archE1200ELNS1_3gpuE4ELNS1_3repE0EEENS1_30default_config_static_selectorELNS0_4arch9wavefront6targetE0EEEvSQ_
	.p2align	8
	.type	_ZN7rocprim17ROCPRIM_400000_NS6detail17trampoline_kernelINS0_14default_configENS1_27lower_bound_config_selectorIiiEEZNS1_14transform_implILb0ES3_S5_N6thrust23THRUST_200600_302600_NS17counting_iteratorIiNS8_11use_defaultESA_SA_EENS8_6detail15normal_iteratorINS8_10device_ptrIiEEEEZNS1_13binary_searchIS3_S5_SG_SB_SG_NS1_21lower_bound_search_opENSC_16wrapped_functionINS0_4lessIvEEbEEEE10hipError_tPvRmT1_T2_T3_mmT4_T5_P12ihipStream_tbEUlRKiE_EESN_SR_SS_mST_SW_bEUlT_E_NS1_11comp_targetILNS1_3genE10ELNS1_11target_archE1200ELNS1_3gpuE4ELNS1_3repE0EEENS1_30default_config_static_selectorELNS0_4arch9wavefront6targetE0EEEvSQ_,@function
_ZN7rocprim17ROCPRIM_400000_NS6detail17trampoline_kernelINS0_14default_configENS1_27lower_bound_config_selectorIiiEEZNS1_14transform_implILb0ES3_S5_N6thrust23THRUST_200600_302600_NS17counting_iteratorIiNS8_11use_defaultESA_SA_EENS8_6detail15normal_iteratorINS8_10device_ptrIiEEEEZNS1_13binary_searchIS3_S5_SG_SB_SG_NS1_21lower_bound_search_opENSC_16wrapped_functionINS0_4lessIvEEbEEEE10hipError_tPvRmT1_T2_T3_mmT4_T5_P12ihipStream_tbEUlRKiE_EESN_SR_SS_mST_SW_bEUlT_E_NS1_11comp_targetILNS1_3genE10ELNS1_11target_archE1200ELNS1_3gpuE4ELNS1_3repE0EEENS1_30default_config_static_selectorELNS0_4arch9wavefront6targetE0EEEvSQ_: ; @_ZN7rocprim17ROCPRIM_400000_NS6detail17trampoline_kernelINS0_14default_configENS1_27lower_bound_config_selectorIiiEEZNS1_14transform_implILb0ES3_S5_N6thrust23THRUST_200600_302600_NS17counting_iteratorIiNS8_11use_defaultESA_SA_EENS8_6detail15normal_iteratorINS8_10device_ptrIiEEEEZNS1_13binary_searchIS3_S5_SG_SB_SG_NS1_21lower_bound_search_opENSC_16wrapped_functionINS0_4lessIvEEbEEEE10hipError_tPvRmT1_T2_T3_mmT4_T5_P12ihipStream_tbEUlRKiE_EESN_SR_SS_mST_SW_bEUlT_E_NS1_11comp_targetILNS1_3genE10ELNS1_11target_archE1200ELNS1_3gpuE4ELNS1_3repE0EEENS1_30default_config_static_selectorELNS0_4arch9wavefront6targetE0EEEvSQ_
; %bb.0:
	.section	.rodata,"a",@progbits
	.p2align	6, 0x0
	.amdhsa_kernel _ZN7rocprim17ROCPRIM_400000_NS6detail17trampoline_kernelINS0_14default_configENS1_27lower_bound_config_selectorIiiEEZNS1_14transform_implILb0ES3_S5_N6thrust23THRUST_200600_302600_NS17counting_iteratorIiNS8_11use_defaultESA_SA_EENS8_6detail15normal_iteratorINS8_10device_ptrIiEEEEZNS1_13binary_searchIS3_S5_SG_SB_SG_NS1_21lower_bound_search_opENSC_16wrapped_functionINS0_4lessIvEEbEEEE10hipError_tPvRmT1_T2_T3_mmT4_T5_P12ihipStream_tbEUlRKiE_EESN_SR_SS_mST_SW_bEUlT_E_NS1_11comp_targetILNS1_3genE10ELNS1_11target_archE1200ELNS1_3gpuE4ELNS1_3repE0EEENS1_30default_config_static_selectorELNS0_4arch9wavefront6targetE0EEEvSQ_
		.amdhsa_group_segment_fixed_size 0
		.amdhsa_private_segment_fixed_size 0
		.amdhsa_kernarg_size 56
		.amdhsa_user_sgpr_count 15
		.amdhsa_user_sgpr_dispatch_ptr 0
		.amdhsa_user_sgpr_queue_ptr 0
		.amdhsa_user_sgpr_kernarg_segment_ptr 1
		.amdhsa_user_sgpr_dispatch_id 0
		.amdhsa_user_sgpr_private_segment_size 0
		.amdhsa_wavefront_size32 1
		.amdhsa_uses_dynamic_stack 0
		.amdhsa_enable_private_segment 0
		.amdhsa_system_sgpr_workgroup_id_x 1
		.amdhsa_system_sgpr_workgroup_id_y 0
		.amdhsa_system_sgpr_workgroup_id_z 0
		.amdhsa_system_sgpr_workgroup_info 0
		.amdhsa_system_vgpr_workitem_id 0
		.amdhsa_next_free_vgpr 1
		.amdhsa_next_free_sgpr 1
		.amdhsa_reserve_vcc 0
		.amdhsa_float_round_mode_32 0
		.amdhsa_float_round_mode_16_64 0
		.amdhsa_float_denorm_mode_32 3
		.amdhsa_float_denorm_mode_16_64 3
		.amdhsa_dx10_clamp 1
		.amdhsa_ieee_mode 1
		.amdhsa_fp16_overflow 0
		.amdhsa_workgroup_processor_mode 1
		.amdhsa_memory_ordered 1
		.amdhsa_forward_progress 0
		.amdhsa_shared_vgpr_count 0
		.amdhsa_exception_fp_ieee_invalid_op 0
		.amdhsa_exception_fp_denorm_src 0
		.amdhsa_exception_fp_ieee_div_zero 0
		.amdhsa_exception_fp_ieee_overflow 0
		.amdhsa_exception_fp_ieee_underflow 0
		.amdhsa_exception_fp_ieee_inexact 0
		.amdhsa_exception_int_div_zero 0
	.end_amdhsa_kernel
	.section	.text._ZN7rocprim17ROCPRIM_400000_NS6detail17trampoline_kernelINS0_14default_configENS1_27lower_bound_config_selectorIiiEEZNS1_14transform_implILb0ES3_S5_N6thrust23THRUST_200600_302600_NS17counting_iteratorIiNS8_11use_defaultESA_SA_EENS8_6detail15normal_iteratorINS8_10device_ptrIiEEEEZNS1_13binary_searchIS3_S5_SG_SB_SG_NS1_21lower_bound_search_opENSC_16wrapped_functionINS0_4lessIvEEbEEEE10hipError_tPvRmT1_T2_T3_mmT4_T5_P12ihipStream_tbEUlRKiE_EESN_SR_SS_mST_SW_bEUlT_E_NS1_11comp_targetILNS1_3genE10ELNS1_11target_archE1200ELNS1_3gpuE4ELNS1_3repE0EEENS1_30default_config_static_selectorELNS0_4arch9wavefront6targetE0EEEvSQ_,"axG",@progbits,_ZN7rocprim17ROCPRIM_400000_NS6detail17trampoline_kernelINS0_14default_configENS1_27lower_bound_config_selectorIiiEEZNS1_14transform_implILb0ES3_S5_N6thrust23THRUST_200600_302600_NS17counting_iteratorIiNS8_11use_defaultESA_SA_EENS8_6detail15normal_iteratorINS8_10device_ptrIiEEEEZNS1_13binary_searchIS3_S5_SG_SB_SG_NS1_21lower_bound_search_opENSC_16wrapped_functionINS0_4lessIvEEbEEEE10hipError_tPvRmT1_T2_T3_mmT4_T5_P12ihipStream_tbEUlRKiE_EESN_SR_SS_mST_SW_bEUlT_E_NS1_11comp_targetILNS1_3genE10ELNS1_11target_archE1200ELNS1_3gpuE4ELNS1_3repE0EEENS1_30default_config_static_selectorELNS0_4arch9wavefront6targetE0EEEvSQ_,comdat
.Lfunc_end92:
	.size	_ZN7rocprim17ROCPRIM_400000_NS6detail17trampoline_kernelINS0_14default_configENS1_27lower_bound_config_selectorIiiEEZNS1_14transform_implILb0ES3_S5_N6thrust23THRUST_200600_302600_NS17counting_iteratorIiNS8_11use_defaultESA_SA_EENS8_6detail15normal_iteratorINS8_10device_ptrIiEEEEZNS1_13binary_searchIS3_S5_SG_SB_SG_NS1_21lower_bound_search_opENSC_16wrapped_functionINS0_4lessIvEEbEEEE10hipError_tPvRmT1_T2_T3_mmT4_T5_P12ihipStream_tbEUlRKiE_EESN_SR_SS_mST_SW_bEUlT_E_NS1_11comp_targetILNS1_3genE10ELNS1_11target_archE1200ELNS1_3gpuE4ELNS1_3repE0EEENS1_30default_config_static_selectorELNS0_4arch9wavefront6targetE0EEEvSQ_, .Lfunc_end92-_ZN7rocprim17ROCPRIM_400000_NS6detail17trampoline_kernelINS0_14default_configENS1_27lower_bound_config_selectorIiiEEZNS1_14transform_implILb0ES3_S5_N6thrust23THRUST_200600_302600_NS17counting_iteratorIiNS8_11use_defaultESA_SA_EENS8_6detail15normal_iteratorINS8_10device_ptrIiEEEEZNS1_13binary_searchIS3_S5_SG_SB_SG_NS1_21lower_bound_search_opENSC_16wrapped_functionINS0_4lessIvEEbEEEE10hipError_tPvRmT1_T2_T3_mmT4_T5_P12ihipStream_tbEUlRKiE_EESN_SR_SS_mST_SW_bEUlT_E_NS1_11comp_targetILNS1_3genE10ELNS1_11target_archE1200ELNS1_3gpuE4ELNS1_3repE0EEENS1_30default_config_static_selectorELNS0_4arch9wavefront6targetE0EEEvSQ_
                                        ; -- End function
	.section	.AMDGPU.csdata,"",@progbits
; Kernel info:
; codeLenInByte = 0
; NumSgprs: 0
; NumVgprs: 0
; ScratchSize: 0
; MemoryBound: 0
; FloatMode: 240
; IeeeMode: 1
; LDSByteSize: 0 bytes/workgroup (compile time only)
; SGPRBlocks: 0
; VGPRBlocks: 0
; NumSGPRsForWavesPerEU: 1
; NumVGPRsForWavesPerEU: 1
; Occupancy: 16
; WaveLimiterHint : 0
; COMPUTE_PGM_RSRC2:SCRATCH_EN: 0
; COMPUTE_PGM_RSRC2:USER_SGPR: 15
; COMPUTE_PGM_RSRC2:TRAP_HANDLER: 0
; COMPUTE_PGM_RSRC2:TGID_X_EN: 1
; COMPUTE_PGM_RSRC2:TGID_Y_EN: 0
; COMPUTE_PGM_RSRC2:TGID_Z_EN: 0
; COMPUTE_PGM_RSRC2:TIDIG_COMP_CNT: 0
	.section	.text._ZN7rocprim17ROCPRIM_400000_NS6detail17trampoline_kernelINS0_14default_configENS1_27lower_bound_config_selectorIiiEEZNS1_14transform_implILb0ES3_S5_N6thrust23THRUST_200600_302600_NS17counting_iteratorIiNS8_11use_defaultESA_SA_EENS8_6detail15normal_iteratorINS8_10device_ptrIiEEEEZNS1_13binary_searchIS3_S5_SG_SB_SG_NS1_21lower_bound_search_opENSC_16wrapped_functionINS0_4lessIvEEbEEEE10hipError_tPvRmT1_T2_T3_mmT4_T5_P12ihipStream_tbEUlRKiE_EESN_SR_SS_mST_SW_bEUlT_E_NS1_11comp_targetILNS1_3genE9ELNS1_11target_archE1100ELNS1_3gpuE3ELNS1_3repE0EEENS1_30default_config_static_selectorELNS0_4arch9wavefront6targetE0EEEvSQ_,"axG",@progbits,_ZN7rocprim17ROCPRIM_400000_NS6detail17trampoline_kernelINS0_14default_configENS1_27lower_bound_config_selectorIiiEEZNS1_14transform_implILb0ES3_S5_N6thrust23THRUST_200600_302600_NS17counting_iteratorIiNS8_11use_defaultESA_SA_EENS8_6detail15normal_iteratorINS8_10device_ptrIiEEEEZNS1_13binary_searchIS3_S5_SG_SB_SG_NS1_21lower_bound_search_opENSC_16wrapped_functionINS0_4lessIvEEbEEEE10hipError_tPvRmT1_T2_T3_mmT4_T5_P12ihipStream_tbEUlRKiE_EESN_SR_SS_mST_SW_bEUlT_E_NS1_11comp_targetILNS1_3genE9ELNS1_11target_archE1100ELNS1_3gpuE3ELNS1_3repE0EEENS1_30default_config_static_selectorELNS0_4arch9wavefront6targetE0EEEvSQ_,comdat
	.protected	_ZN7rocprim17ROCPRIM_400000_NS6detail17trampoline_kernelINS0_14default_configENS1_27lower_bound_config_selectorIiiEEZNS1_14transform_implILb0ES3_S5_N6thrust23THRUST_200600_302600_NS17counting_iteratorIiNS8_11use_defaultESA_SA_EENS8_6detail15normal_iteratorINS8_10device_ptrIiEEEEZNS1_13binary_searchIS3_S5_SG_SB_SG_NS1_21lower_bound_search_opENSC_16wrapped_functionINS0_4lessIvEEbEEEE10hipError_tPvRmT1_T2_T3_mmT4_T5_P12ihipStream_tbEUlRKiE_EESN_SR_SS_mST_SW_bEUlT_E_NS1_11comp_targetILNS1_3genE9ELNS1_11target_archE1100ELNS1_3gpuE3ELNS1_3repE0EEENS1_30default_config_static_selectorELNS0_4arch9wavefront6targetE0EEEvSQ_ ; -- Begin function _ZN7rocprim17ROCPRIM_400000_NS6detail17trampoline_kernelINS0_14default_configENS1_27lower_bound_config_selectorIiiEEZNS1_14transform_implILb0ES3_S5_N6thrust23THRUST_200600_302600_NS17counting_iteratorIiNS8_11use_defaultESA_SA_EENS8_6detail15normal_iteratorINS8_10device_ptrIiEEEEZNS1_13binary_searchIS3_S5_SG_SB_SG_NS1_21lower_bound_search_opENSC_16wrapped_functionINS0_4lessIvEEbEEEE10hipError_tPvRmT1_T2_T3_mmT4_T5_P12ihipStream_tbEUlRKiE_EESN_SR_SS_mST_SW_bEUlT_E_NS1_11comp_targetILNS1_3genE9ELNS1_11target_archE1100ELNS1_3gpuE3ELNS1_3repE0EEENS1_30default_config_static_selectorELNS0_4arch9wavefront6targetE0EEEvSQ_
	.globl	_ZN7rocprim17ROCPRIM_400000_NS6detail17trampoline_kernelINS0_14default_configENS1_27lower_bound_config_selectorIiiEEZNS1_14transform_implILb0ES3_S5_N6thrust23THRUST_200600_302600_NS17counting_iteratorIiNS8_11use_defaultESA_SA_EENS8_6detail15normal_iteratorINS8_10device_ptrIiEEEEZNS1_13binary_searchIS3_S5_SG_SB_SG_NS1_21lower_bound_search_opENSC_16wrapped_functionINS0_4lessIvEEbEEEE10hipError_tPvRmT1_T2_T3_mmT4_T5_P12ihipStream_tbEUlRKiE_EESN_SR_SS_mST_SW_bEUlT_E_NS1_11comp_targetILNS1_3genE9ELNS1_11target_archE1100ELNS1_3gpuE3ELNS1_3repE0EEENS1_30default_config_static_selectorELNS0_4arch9wavefront6targetE0EEEvSQ_
	.p2align	8
	.type	_ZN7rocprim17ROCPRIM_400000_NS6detail17trampoline_kernelINS0_14default_configENS1_27lower_bound_config_selectorIiiEEZNS1_14transform_implILb0ES3_S5_N6thrust23THRUST_200600_302600_NS17counting_iteratorIiNS8_11use_defaultESA_SA_EENS8_6detail15normal_iteratorINS8_10device_ptrIiEEEEZNS1_13binary_searchIS3_S5_SG_SB_SG_NS1_21lower_bound_search_opENSC_16wrapped_functionINS0_4lessIvEEbEEEE10hipError_tPvRmT1_T2_T3_mmT4_T5_P12ihipStream_tbEUlRKiE_EESN_SR_SS_mST_SW_bEUlT_E_NS1_11comp_targetILNS1_3genE9ELNS1_11target_archE1100ELNS1_3gpuE3ELNS1_3repE0EEENS1_30default_config_static_selectorELNS0_4arch9wavefront6targetE0EEEvSQ_,@function
_ZN7rocprim17ROCPRIM_400000_NS6detail17trampoline_kernelINS0_14default_configENS1_27lower_bound_config_selectorIiiEEZNS1_14transform_implILb0ES3_S5_N6thrust23THRUST_200600_302600_NS17counting_iteratorIiNS8_11use_defaultESA_SA_EENS8_6detail15normal_iteratorINS8_10device_ptrIiEEEEZNS1_13binary_searchIS3_S5_SG_SB_SG_NS1_21lower_bound_search_opENSC_16wrapped_functionINS0_4lessIvEEbEEEE10hipError_tPvRmT1_T2_T3_mmT4_T5_P12ihipStream_tbEUlRKiE_EESN_SR_SS_mST_SW_bEUlT_E_NS1_11comp_targetILNS1_3genE9ELNS1_11target_archE1100ELNS1_3gpuE3ELNS1_3repE0EEENS1_30default_config_static_selectorELNS0_4arch9wavefront6targetE0EEEvSQ_: ; @_ZN7rocprim17ROCPRIM_400000_NS6detail17trampoline_kernelINS0_14default_configENS1_27lower_bound_config_selectorIiiEEZNS1_14transform_implILb0ES3_S5_N6thrust23THRUST_200600_302600_NS17counting_iteratorIiNS8_11use_defaultESA_SA_EENS8_6detail15normal_iteratorINS8_10device_ptrIiEEEEZNS1_13binary_searchIS3_S5_SG_SB_SG_NS1_21lower_bound_search_opENSC_16wrapped_functionINS0_4lessIvEEbEEEE10hipError_tPvRmT1_T2_T3_mmT4_T5_P12ihipStream_tbEUlRKiE_EESN_SR_SS_mST_SW_bEUlT_E_NS1_11comp_targetILNS1_3genE9ELNS1_11target_archE1100ELNS1_3gpuE3ELNS1_3repE0EEENS1_30default_config_static_selectorELNS0_4arch9wavefront6targetE0EEEvSQ_
; %bb.0:
	s_clause 0x4
	s_load_b32 s12, s[0:1], 0x0
	s_load_b64 s[2:3], s[0:1], 0x8
	s_load_b32 s9, s[0:1], 0x38
	s_load_b128 s[4:7], s[0:1], 0x18
	s_load_b64 s[10:11], s[0:1], 0x28
	s_lshl_b32 s8, s15, 7
	s_mov_b32 s14, -1
	s_waitcnt lgkmcnt(0)
	s_add_i32 s12, s12, s2
	s_add_i32 s13, s9, -1
	s_mov_b32 s9, 0
	s_cmp_lg_u32 s15, s13
	s_cbranch_scc0 .LBB93_5
; %bb.1:
	s_cmp_eq_u64 s[10:11], 0
	s_cbranch_scc1 .LBB93_6
; %bb.2:
	v_mov_b32_e32 v1, 0
	v_dual_mov_b32 v2, 0 :: v_dual_mov_b32 v3, s10
	v_add3_u32 v5, s12, s8, v0
	v_mov_b32_e32 v4, s11
	s_mov_b32 s13, 0
	.p2align	6
.LBB93_3:                               ; =>This Inner Loop Header: Depth=1
	s_delay_alu instid0(VALU_DEP_3) | instskip(NEXT) | instid1(VALU_DEP_2)
	v_sub_co_u32 v6, vcc_lo, v3, v1
	v_sub_co_ci_u32_e32 v7, vcc_lo, v4, v2, vcc_lo
	s_delay_alu instid0(VALU_DEP_1) | instskip(SKIP_1) | instid1(VALU_DEP_2)
	v_lshrrev_b64 v[8:9], 1, v[6:7]
	v_lshrrev_b64 v[6:7], 6, v[6:7]
	v_add_co_u32 v8, vcc_lo, v8, v1
	s_delay_alu instid0(VALU_DEP_3) | instskip(NEXT) | instid1(VALU_DEP_2)
	v_add_co_ci_u32_e32 v9, vcc_lo, v9, v2, vcc_lo
	v_add_co_u32 v6, vcc_lo, v8, v6
	s_delay_alu instid0(VALU_DEP_2) | instskip(NEXT) | instid1(VALU_DEP_1)
	v_add_co_ci_u32_e32 v7, vcc_lo, v9, v7, vcc_lo
	v_lshlrev_b64 v[8:9], 2, v[6:7]
	s_delay_alu instid0(VALU_DEP_1) | instskip(NEXT) | instid1(VALU_DEP_2)
	v_add_co_u32 v8, vcc_lo, s6, v8
	v_add_co_ci_u32_e32 v9, vcc_lo, s7, v9, vcc_lo
	global_load_b32 v8, v[8:9], off
	v_add_co_u32 v9, vcc_lo, v6, 1
	v_add_co_ci_u32_e32 v10, vcc_lo, 0, v7, vcc_lo
	s_waitcnt vmcnt(0)
	v_cmp_lt_i32_e32 vcc_lo, v8, v5
	v_dual_cndmask_b32 v4, v7, v4 :: v_dual_cndmask_b32 v3, v6, v3
	s_delay_alu instid0(VALU_DEP_3) | instskip(NEXT) | instid1(VALU_DEP_1)
	v_dual_cndmask_b32 v2, v2, v10 :: v_dual_cndmask_b32 v1, v1, v9
	v_cmp_ge_u64_e32 vcc_lo, v[1:2], v[3:4]
	s_or_b32 s13, vcc_lo, s13
	s_delay_alu instid0(SALU_CYCLE_1)
	s_and_not1_b32 exec_lo, exec_lo, s13
	s_cbranch_execnz .LBB93_3
; %bb.4:
	s_or_b32 exec_lo, exec_lo, s13
	s_branch .LBB93_7
.LBB93_5:
	s_mov_b32 s13, s9
                                        ; implicit-def: $vgpr1
	s_and_not1_b32 vcc_lo, exec_lo, s14
	s_cbranch_vccz .LBB93_8
	s_branch .LBB93_15
.LBB93_6:
	v_mov_b32_e32 v1, 0
.LBB93_7:
	s_mov_b32 s13, -1
	s_cbranch_execnz .LBB93_15
.LBB93_8:
	s_load_b32 s0, s[0:1], 0x10
                                        ; implicit-def: $vgpr1
	s_waitcnt lgkmcnt(0)
	s_sub_i32 s0, s0, s8
	s_delay_alu instid0(SALU_CYCLE_1) | instskip(NEXT) | instid1(VALU_DEP_1)
	v_cmp_gt_u32_e64 s13, s0, v0
	s_and_saveexec_b32 s0, s13
	s_cbranch_execz .LBB93_14
; %bb.9:
	s_cmp_eq_u64 s[10:11], 0
	s_cbranch_scc1 .LBB93_13
; %bb.10:
	v_mov_b32_e32 v1, 0
	v_dual_mov_b32 v2, 0 :: v_dual_mov_b32 v3, s10
	v_add3_u32 v5, s12, s8, v0
	v_mov_b32_e32 v4, s11
	s_mov_b32 s1, 0
	.p2align	6
.LBB93_11:                              ; =>This Inner Loop Header: Depth=1
	s_delay_alu instid0(VALU_DEP_3) | instskip(NEXT) | instid1(VALU_DEP_2)
	v_sub_co_u32 v6, vcc_lo, v3, v1
	v_sub_co_ci_u32_e32 v7, vcc_lo, v4, v2, vcc_lo
	s_delay_alu instid0(VALU_DEP_1) | instskip(SKIP_1) | instid1(VALU_DEP_2)
	v_lshrrev_b64 v[8:9], 1, v[6:7]
	v_lshrrev_b64 v[6:7], 6, v[6:7]
	v_add_co_u32 v8, vcc_lo, v8, v1
	s_delay_alu instid0(VALU_DEP_3) | instskip(NEXT) | instid1(VALU_DEP_2)
	v_add_co_ci_u32_e32 v9, vcc_lo, v9, v2, vcc_lo
	v_add_co_u32 v6, vcc_lo, v8, v6
	s_delay_alu instid0(VALU_DEP_2) | instskip(NEXT) | instid1(VALU_DEP_1)
	v_add_co_ci_u32_e32 v7, vcc_lo, v9, v7, vcc_lo
	v_lshlrev_b64 v[8:9], 2, v[6:7]
	s_delay_alu instid0(VALU_DEP_1) | instskip(NEXT) | instid1(VALU_DEP_2)
	v_add_co_u32 v8, vcc_lo, s6, v8
	v_add_co_ci_u32_e32 v9, vcc_lo, s7, v9, vcc_lo
	global_load_b32 v8, v[8:9], off
	v_add_co_u32 v9, vcc_lo, v6, 1
	v_add_co_ci_u32_e32 v10, vcc_lo, 0, v7, vcc_lo
	s_waitcnt vmcnt(0)
	v_cmp_lt_i32_e32 vcc_lo, v8, v5
	v_dual_cndmask_b32 v4, v7, v4 :: v_dual_cndmask_b32 v3, v6, v3
	s_delay_alu instid0(VALU_DEP_3) | instskip(NEXT) | instid1(VALU_DEP_1)
	v_dual_cndmask_b32 v2, v2, v10 :: v_dual_cndmask_b32 v1, v1, v9
	v_cmp_ge_u64_e32 vcc_lo, v[1:2], v[3:4]
	s_or_b32 s1, vcc_lo, s1
	s_delay_alu instid0(SALU_CYCLE_1)
	s_and_not1_b32 exec_lo, exec_lo, s1
	s_cbranch_execnz .LBB93_11
; %bb.12:
	s_or_b32 exec_lo, exec_lo, s1
	s_branch .LBB93_14
.LBB93_13:
	v_mov_b32_e32 v1, 0
.LBB93_14:
	s_or_b32 exec_lo, exec_lo, s0
.LBB93_15:
	s_and_saveexec_b32 s0, s13
	s_cbranch_execnz .LBB93_17
; %bb.16:
	s_endpgm
.LBB93_17:
	s_lshl_b64 s[0:1], s[2:3], 2
	v_lshlrev_b32_e32 v0, 2, v0
	s_add_u32 s2, s4, s0
	s_addc_u32 s3, s5, s1
	s_lshl_b64 s[0:1], s[8:9], 2
	s_delay_alu instid0(SALU_CYCLE_1) | instskip(SKIP_2) | instid1(VALU_DEP_1)
	s_add_u32 s0, s2, s0
	s_addc_u32 s1, s3, s1
	v_add_co_u32 v2, s0, s0, v0
	v_add_co_ci_u32_e64 v3, null, s1, 0, s0
	flat_store_b32 v[2:3], v1
	s_endpgm
	.section	.rodata,"a",@progbits
	.p2align	6, 0x0
	.amdhsa_kernel _ZN7rocprim17ROCPRIM_400000_NS6detail17trampoline_kernelINS0_14default_configENS1_27lower_bound_config_selectorIiiEEZNS1_14transform_implILb0ES3_S5_N6thrust23THRUST_200600_302600_NS17counting_iteratorIiNS8_11use_defaultESA_SA_EENS8_6detail15normal_iteratorINS8_10device_ptrIiEEEEZNS1_13binary_searchIS3_S5_SG_SB_SG_NS1_21lower_bound_search_opENSC_16wrapped_functionINS0_4lessIvEEbEEEE10hipError_tPvRmT1_T2_T3_mmT4_T5_P12ihipStream_tbEUlRKiE_EESN_SR_SS_mST_SW_bEUlT_E_NS1_11comp_targetILNS1_3genE9ELNS1_11target_archE1100ELNS1_3gpuE3ELNS1_3repE0EEENS1_30default_config_static_selectorELNS0_4arch9wavefront6targetE0EEEvSQ_
		.amdhsa_group_segment_fixed_size 0
		.amdhsa_private_segment_fixed_size 0
		.amdhsa_kernarg_size 312
		.amdhsa_user_sgpr_count 15
		.amdhsa_user_sgpr_dispatch_ptr 0
		.amdhsa_user_sgpr_queue_ptr 0
		.amdhsa_user_sgpr_kernarg_segment_ptr 1
		.amdhsa_user_sgpr_dispatch_id 0
		.amdhsa_user_sgpr_private_segment_size 0
		.amdhsa_wavefront_size32 1
		.amdhsa_uses_dynamic_stack 0
		.amdhsa_enable_private_segment 0
		.amdhsa_system_sgpr_workgroup_id_x 1
		.amdhsa_system_sgpr_workgroup_id_y 0
		.amdhsa_system_sgpr_workgroup_id_z 0
		.amdhsa_system_sgpr_workgroup_info 0
		.amdhsa_system_vgpr_workitem_id 0
		.amdhsa_next_free_vgpr 11
		.amdhsa_next_free_sgpr 16
		.amdhsa_reserve_vcc 1
		.amdhsa_float_round_mode_32 0
		.amdhsa_float_round_mode_16_64 0
		.amdhsa_float_denorm_mode_32 3
		.amdhsa_float_denorm_mode_16_64 3
		.amdhsa_dx10_clamp 1
		.amdhsa_ieee_mode 1
		.amdhsa_fp16_overflow 0
		.amdhsa_workgroup_processor_mode 1
		.amdhsa_memory_ordered 1
		.amdhsa_forward_progress 0
		.amdhsa_shared_vgpr_count 0
		.amdhsa_exception_fp_ieee_invalid_op 0
		.amdhsa_exception_fp_denorm_src 0
		.amdhsa_exception_fp_ieee_div_zero 0
		.amdhsa_exception_fp_ieee_overflow 0
		.amdhsa_exception_fp_ieee_underflow 0
		.amdhsa_exception_fp_ieee_inexact 0
		.amdhsa_exception_int_div_zero 0
	.end_amdhsa_kernel
	.section	.text._ZN7rocprim17ROCPRIM_400000_NS6detail17trampoline_kernelINS0_14default_configENS1_27lower_bound_config_selectorIiiEEZNS1_14transform_implILb0ES3_S5_N6thrust23THRUST_200600_302600_NS17counting_iteratorIiNS8_11use_defaultESA_SA_EENS8_6detail15normal_iteratorINS8_10device_ptrIiEEEEZNS1_13binary_searchIS3_S5_SG_SB_SG_NS1_21lower_bound_search_opENSC_16wrapped_functionINS0_4lessIvEEbEEEE10hipError_tPvRmT1_T2_T3_mmT4_T5_P12ihipStream_tbEUlRKiE_EESN_SR_SS_mST_SW_bEUlT_E_NS1_11comp_targetILNS1_3genE9ELNS1_11target_archE1100ELNS1_3gpuE3ELNS1_3repE0EEENS1_30default_config_static_selectorELNS0_4arch9wavefront6targetE0EEEvSQ_,"axG",@progbits,_ZN7rocprim17ROCPRIM_400000_NS6detail17trampoline_kernelINS0_14default_configENS1_27lower_bound_config_selectorIiiEEZNS1_14transform_implILb0ES3_S5_N6thrust23THRUST_200600_302600_NS17counting_iteratorIiNS8_11use_defaultESA_SA_EENS8_6detail15normal_iteratorINS8_10device_ptrIiEEEEZNS1_13binary_searchIS3_S5_SG_SB_SG_NS1_21lower_bound_search_opENSC_16wrapped_functionINS0_4lessIvEEbEEEE10hipError_tPvRmT1_T2_T3_mmT4_T5_P12ihipStream_tbEUlRKiE_EESN_SR_SS_mST_SW_bEUlT_E_NS1_11comp_targetILNS1_3genE9ELNS1_11target_archE1100ELNS1_3gpuE3ELNS1_3repE0EEENS1_30default_config_static_selectorELNS0_4arch9wavefront6targetE0EEEvSQ_,comdat
.Lfunc_end93:
	.size	_ZN7rocprim17ROCPRIM_400000_NS6detail17trampoline_kernelINS0_14default_configENS1_27lower_bound_config_selectorIiiEEZNS1_14transform_implILb0ES3_S5_N6thrust23THRUST_200600_302600_NS17counting_iteratorIiNS8_11use_defaultESA_SA_EENS8_6detail15normal_iteratorINS8_10device_ptrIiEEEEZNS1_13binary_searchIS3_S5_SG_SB_SG_NS1_21lower_bound_search_opENSC_16wrapped_functionINS0_4lessIvEEbEEEE10hipError_tPvRmT1_T2_T3_mmT4_T5_P12ihipStream_tbEUlRKiE_EESN_SR_SS_mST_SW_bEUlT_E_NS1_11comp_targetILNS1_3genE9ELNS1_11target_archE1100ELNS1_3gpuE3ELNS1_3repE0EEENS1_30default_config_static_selectorELNS0_4arch9wavefront6targetE0EEEvSQ_, .Lfunc_end93-_ZN7rocprim17ROCPRIM_400000_NS6detail17trampoline_kernelINS0_14default_configENS1_27lower_bound_config_selectorIiiEEZNS1_14transform_implILb0ES3_S5_N6thrust23THRUST_200600_302600_NS17counting_iteratorIiNS8_11use_defaultESA_SA_EENS8_6detail15normal_iteratorINS8_10device_ptrIiEEEEZNS1_13binary_searchIS3_S5_SG_SB_SG_NS1_21lower_bound_search_opENSC_16wrapped_functionINS0_4lessIvEEbEEEE10hipError_tPvRmT1_T2_T3_mmT4_T5_P12ihipStream_tbEUlRKiE_EESN_SR_SS_mST_SW_bEUlT_E_NS1_11comp_targetILNS1_3genE9ELNS1_11target_archE1100ELNS1_3gpuE3ELNS1_3repE0EEENS1_30default_config_static_selectorELNS0_4arch9wavefront6targetE0EEEvSQ_
                                        ; -- End function
	.section	.AMDGPU.csdata,"",@progbits
; Kernel info:
; codeLenInByte = 628
; NumSgprs: 18
; NumVgprs: 11
; ScratchSize: 0
; MemoryBound: 0
; FloatMode: 240
; IeeeMode: 1
; LDSByteSize: 0 bytes/workgroup (compile time only)
; SGPRBlocks: 2
; VGPRBlocks: 1
; NumSGPRsForWavesPerEU: 18
; NumVGPRsForWavesPerEU: 11
; Occupancy: 16
; WaveLimiterHint : 0
; COMPUTE_PGM_RSRC2:SCRATCH_EN: 0
; COMPUTE_PGM_RSRC2:USER_SGPR: 15
; COMPUTE_PGM_RSRC2:TRAP_HANDLER: 0
; COMPUTE_PGM_RSRC2:TGID_X_EN: 1
; COMPUTE_PGM_RSRC2:TGID_Y_EN: 0
; COMPUTE_PGM_RSRC2:TGID_Z_EN: 0
; COMPUTE_PGM_RSRC2:TIDIG_COMP_CNT: 0
	.section	.text._ZN7rocprim17ROCPRIM_400000_NS6detail17trampoline_kernelINS0_14default_configENS1_27lower_bound_config_selectorIiiEEZNS1_14transform_implILb0ES3_S5_N6thrust23THRUST_200600_302600_NS17counting_iteratorIiNS8_11use_defaultESA_SA_EENS8_6detail15normal_iteratorINS8_10device_ptrIiEEEEZNS1_13binary_searchIS3_S5_SG_SB_SG_NS1_21lower_bound_search_opENSC_16wrapped_functionINS0_4lessIvEEbEEEE10hipError_tPvRmT1_T2_T3_mmT4_T5_P12ihipStream_tbEUlRKiE_EESN_SR_SS_mST_SW_bEUlT_E_NS1_11comp_targetILNS1_3genE8ELNS1_11target_archE1030ELNS1_3gpuE2ELNS1_3repE0EEENS1_30default_config_static_selectorELNS0_4arch9wavefront6targetE0EEEvSQ_,"axG",@progbits,_ZN7rocprim17ROCPRIM_400000_NS6detail17trampoline_kernelINS0_14default_configENS1_27lower_bound_config_selectorIiiEEZNS1_14transform_implILb0ES3_S5_N6thrust23THRUST_200600_302600_NS17counting_iteratorIiNS8_11use_defaultESA_SA_EENS8_6detail15normal_iteratorINS8_10device_ptrIiEEEEZNS1_13binary_searchIS3_S5_SG_SB_SG_NS1_21lower_bound_search_opENSC_16wrapped_functionINS0_4lessIvEEbEEEE10hipError_tPvRmT1_T2_T3_mmT4_T5_P12ihipStream_tbEUlRKiE_EESN_SR_SS_mST_SW_bEUlT_E_NS1_11comp_targetILNS1_3genE8ELNS1_11target_archE1030ELNS1_3gpuE2ELNS1_3repE0EEENS1_30default_config_static_selectorELNS0_4arch9wavefront6targetE0EEEvSQ_,comdat
	.protected	_ZN7rocprim17ROCPRIM_400000_NS6detail17trampoline_kernelINS0_14default_configENS1_27lower_bound_config_selectorIiiEEZNS1_14transform_implILb0ES3_S5_N6thrust23THRUST_200600_302600_NS17counting_iteratorIiNS8_11use_defaultESA_SA_EENS8_6detail15normal_iteratorINS8_10device_ptrIiEEEEZNS1_13binary_searchIS3_S5_SG_SB_SG_NS1_21lower_bound_search_opENSC_16wrapped_functionINS0_4lessIvEEbEEEE10hipError_tPvRmT1_T2_T3_mmT4_T5_P12ihipStream_tbEUlRKiE_EESN_SR_SS_mST_SW_bEUlT_E_NS1_11comp_targetILNS1_3genE8ELNS1_11target_archE1030ELNS1_3gpuE2ELNS1_3repE0EEENS1_30default_config_static_selectorELNS0_4arch9wavefront6targetE0EEEvSQ_ ; -- Begin function _ZN7rocprim17ROCPRIM_400000_NS6detail17trampoline_kernelINS0_14default_configENS1_27lower_bound_config_selectorIiiEEZNS1_14transform_implILb0ES3_S5_N6thrust23THRUST_200600_302600_NS17counting_iteratorIiNS8_11use_defaultESA_SA_EENS8_6detail15normal_iteratorINS8_10device_ptrIiEEEEZNS1_13binary_searchIS3_S5_SG_SB_SG_NS1_21lower_bound_search_opENSC_16wrapped_functionINS0_4lessIvEEbEEEE10hipError_tPvRmT1_T2_T3_mmT4_T5_P12ihipStream_tbEUlRKiE_EESN_SR_SS_mST_SW_bEUlT_E_NS1_11comp_targetILNS1_3genE8ELNS1_11target_archE1030ELNS1_3gpuE2ELNS1_3repE0EEENS1_30default_config_static_selectorELNS0_4arch9wavefront6targetE0EEEvSQ_
	.globl	_ZN7rocprim17ROCPRIM_400000_NS6detail17trampoline_kernelINS0_14default_configENS1_27lower_bound_config_selectorIiiEEZNS1_14transform_implILb0ES3_S5_N6thrust23THRUST_200600_302600_NS17counting_iteratorIiNS8_11use_defaultESA_SA_EENS8_6detail15normal_iteratorINS8_10device_ptrIiEEEEZNS1_13binary_searchIS3_S5_SG_SB_SG_NS1_21lower_bound_search_opENSC_16wrapped_functionINS0_4lessIvEEbEEEE10hipError_tPvRmT1_T2_T3_mmT4_T5_P12ihipStream_tbEUlRKiE_EESN_SR_SS_mST_SW_bEUlT_E_NS1_11comp_targetILNS1_3genE8ELNS1_11target_archE1030ELNS1_3gpuE2ELNS1_3repE0EEENS1_30default_config_static_selectorELNS0_4arch9wavefront6targetE0EEEvSQ_
	.p2align	8
	.type	_ZN7rocprim17ROCPRIM_400000_NS6detail17trampoline_kernelINS0_14default_configENS1_27lower_bound_config_selectorIiiEEZNS1_14transform_implILb0ES3_S5_N6thrust23THRUST_200600_302600_NS17counting_iteratorIiNS8_11use_defaultESA_SA_EENS8_6detail15normal_iteratorINS8_10device_ptrIiEEEEZNS1_13binary_searchIS3_S5_SG_SB_SG_NS1_21lower_bound_search_opENSC_16wrapped_functionINS0_4lessIvEEbEEEE10hipError_tPvRmT1_T2_T3_mmT4_T5_P12ihipStream_tbEUlRKiE_EESN_SR_SS_mST_SW_bEUlT_E_NS1_11comp_targetILNS1_3genE8ELNS1_11target_archE1030ELNS1_3gpuE2ELNS1_3repE0EEENS1_30default_config_static_selectorELNS0_4arch9wavefront6targetE0EEEvSQ_,@function
_ZN7rocprim17ROCPRIM_400000_NS6detail17trampoline_kernelINS0_14default_configENS1_27lower_bound_config_selectorIiiEEZNS1_14transform_implILb0ES3_S5_N6thrust23THRUST_200600_302600_NS17counting_iteratorIiNS8_11use_defaultESA_SA_EENS8_6detail15normal_iteratorINS8_10device_ptrIiEEEEZNS1_13binary_searchIS3_S5_SG_SB_SG_NS1_21lower_bound_search_opENSC_16wrapped_functionINS0_4lessIvEEbEEEE10hipError_tPvRmT1_T2_T3_mmT4_T5_P12ihipStream_tbEUlRKiE_EESN_SR_SS_mST_SW_bEUlT_E_NS1_11comp_targetILNS1_3genE8ELNS1_11target_archE1030ELNS1_3gpuE2ELNS1_3repE0EEENS1_30default_config_static_selectorELNS0_4arch9wavefront6targetE0EEEvSQ_: ; @_ZN7rocprim17ROCPRIM_400000_NS6detail17trampoline_kernelINS0_14default_configENS1_27lower_bound_config_selectorIiiEEZNS1_14transform_implILb0ES3_S5_N6thrust23THRUST_200600_302600_NS17counting_iteratorIiNS8_11use_defaultESA_SA_EENS8_6detail15normal_iteratorINS8_10device_ptrIiEEEEZNS1_13binary_searchIS3_S5_SG_SB_SG_NS1_21lower_bound_search_opENSC_16wrapped_functionINS0_4lessIvEEbEEEE10hipError_tPvRmT1_T2_T3_mmT4_T5_P12ihipStream_tbEUlRKiE_EESN_SR_SS_mST_SW_bEUlT_E_NS1_11comp_targetILNS1_3genE8ELNS1_11target_archE1030ELNS1_3gpuE2ELNS1_3repE0EEENS1_30default_config_static_selectorELNS0_4arch9wavefront6targetE0EEEvSQ_
; %bb.0:
	.section	.rodata,"a",@progbits
	.p2align	6, 0x0
	.amdhsa_kernel _ZN7rocprim17ROCPRIM_400000_NS6detail17trampoline_kernelINS0_14default_configENS1_27lower_bound_config_selectorIiiEEZNS1_14transform_implILb0ES3_S5_N6thrust23THRUST_200600_302600_NS17counting_iteratorIiNS8_11use_defaultESA_SA_EENS8_6detail15normal_iteratorINS8_10device_ptrIiEEEEZNS1_13binary_searchIS3_S5_SG_SB_SG_NS1_21lower_bound_search_opENSC_16wrapped_functionINS0_4lessIvEEbEEEE10hipError_tPvRmT1_T2_T3_mmT4_T5_P12ihipStream_tbEUlRKiE_EESN_SR_SS_mST_SW_bEUlT_E_NS1_11comp_targetILNS1_3genE8ELNS1_11target_archE1030ELNS1_3gpuE2ELNS1_3repE0EEENS1_30default_config_static_selectorELNS0_4arch9wavefront6targetE0EEEvSQ_
		.amdhsa_group_segment_fixed_size 0
		.amdhsa_private_segment_fixed_size 0
		.amdhsa_kernarg_size 56
		.amdhsa_user_sgpr_count 15
		.amdhsa_user_sgpr_dispatch_ptr 0
		.amdhsa_user_sgpr_queue_ptr 0
		.amdhsa_user_sgpr_kernarg_segment_ptr 1
		.amdhsa_user_sgpr_dispatch_id 0
		.amdhsa_user_sgpr_private_segment_size 0
		.amdhsa_wavefront_size32 1
		.amdhsa_uses_dynamic_stack 0
		.amdhsa_enable_private_segment 0
		.amdhsa_system_sgpr_workgroup_id_x 1
		.amdhsa_system_sgpr_workgroup_id_y 0
		.amdhsa_system_sgpr_workgroup_id_z 0
		.amdhsa_system_sgpr_workgroup_info 0
		.amdhsa_system_vgpr_workitem_id 0
		.amdhsa_next_free_vgpr 1
		.amdhsa_next_free_sgpr 1
		.amdhsa_reserve_vcc 0
		.amdhsa_float_round_mode_32 0
		.amdhsa_float_round_mode_16_64 0
		.amdhsa_float_denorm_mode_32 3
		.amdhsa_float_denorm_mode_16_64 3
		.amdhsa_dx10_clamp 1
		.amdhsa_ieee_mode 1
		.amdhsa_fp16_overflow 0
		.amdhsa_workgroup_processor_mode 1
		.amdhsa_memory_ordered 1
		.amdhsa_forward_progress 0
		.amdhsa_shared_vgpr_count 0
		.amdhsa_exception_fp_ieee_invalid_op 0
		.amdhsa_exception_fp_denorm_src 0
		.amdhsa_exception_fp_ieee_div_zero 0
		.amdhsa_exception_fp_ieee_overflow 0
		.amdhsa_exception_fp_ieee_underflow 0
		.amdhsa_exception_fp_ieee_inexact 0
		.amdhsa_exception_int_div_zero 0
	.end_amdhsa_kernel
	.section	.text._ZN7rocprim17ROCPRIM_400000_NS6detail17trampoline_kernelINS0_14default_configENS1_27lower_bound_config_selectorIiiEEZNS1_14transform_implILb0ES3_S5_N6thrust23THRUST_200600_302600_NS17counting_iteratorIiNS8_11use_defaultESA_SA_EENS8_6detail15normal_iteratorINS8_10device_ptrIiEEEEZNS1_13binary_searchIS3_S5_SG_SB_SG_NS1_21lower_bound_search_opENSC_16wrapped_functionINS0_4lessIvEEbEEEE10hipError_tPvRmT1_T2_T3_mmT4_T5_P12ihipStream_tbEUlRKiE_EESN_SR_SS_mST_SW_bEUlT_E_NS1_11comp_targetILNS1_3genE8ELNS1_11target_archE1030ELNS1_3gpuE2ELNS1_3repE0EEENS1_30default_config_static_selectorELNS0_4arch9wavefront6targetE0EEEvSQ_,"axG",@progbits,_ZN7rocprim17ROCPRIM_400000_NS6detail17trampoline_kernelINS0_14default_configENS1_27lower_bound_config_selectorIiiEEZNS1_14transform_implILb0ES3_S5_N6thrust23THRUST_200600_302600_NS17counting_iteratorIiNS8_11use_defaultESA_SA_EENS8_6detail15normal_iteratorINS8_10device_ptrIiEEEEZNS1_13binary_searchIS3_S5_SG_SB_SG_NS1_21lower_bound_search_opENSC_16wrapped_functionINS0_4lessIvEEbEEEE10hipError_tPvRmT1_T2_T3_mmT4_T5_P12ihipStream_tbEUlRKiE_EESN_SR_SS_mST_SW_bEUlT_E_NS1_11comp_targetILNS1_3genE8ELNS1_11target_archE1030ELNS1_3gpuE2ELNS1_3repE0EEENS1_30default_config_static_selectorELNS0_4arch9wavefront6targetE0EEEvSQ_,comdat
.Lfunc_end94:
	.size	_ZN7rocprim17ROCPRIM_400000_NS6detail17trampoline_kernelINS0_14default_configENS1_27lower_bound_config_selectorIiiEEZNS1_14transform_implILb0ES3_S5_N6thrust23THRUST_200600_302600_NS17counting_iteratorIiNS8_11use_defaultESA_SA_EENS8_6detail15normal_iteratorINS8_10device_ptrIiEEEEZNS1_13binary_searchIS3_S5_SG_SB_SG_NS1_21lower_bound_search_opENSC_16wrapped_functionINS0_4lessIvEEbEEEE10hipError_tPvRmT1_T2_T3_mmT4_T5_P12ihipStream_tbEUlRKiE_EESN_SR_SS_mST_SW_bEUlT_E_NS1_11comp_targetILNS1_3genE8ELNS1_11target_archE1030ELNS1_3gpuE2ELNS1_3repE0EEENS1_30default_config_static_selectorELNS0_4arch9wavefront6targetE0EEEvSQ_, .Lfunc_end94-_ZN7rocprim17ROCPRIM_400000_NS6detail17trampoline_kernelINS0_14default_configENS1_27lower_bound_config_selectorIiiEEZNS1_14transform_implILb0ES3_S5_N6thrust23THRUST_200600_302600_NS17counting_iteratorIiNS8_11use_defaultESA_SA_EENS8_6detail15normal_iteratorINS8_10device_ptrIiEEEEZNS1_13binary_searchIS3_S5_SG_SB_SG_NS1_21lower_bound_search_opENSC_16wrapped_functionINS0_4lessIvEEbEEEE10hipError_tPvRmT1_T2_T3_mmT4_T5_P12ihipStream_tbEUlRKiE_EESN_SR_SS_mST_SW_bEUlT_E_NS1_11comp_targetILNS1_3genE8ELNS1_11target_archE1030ELNS1_3gpuE2ELNS1_3repE0EEENS1_30default_config_static_selectorELNS0_4arch9wavefront6targetE0EEEvSQ_
                                        ; -- End function
	.section	.AMDGPU.csdata,"",@progbits
; Kernel info:
; codeLenInByte = 0
; NumSgprs: 0
; NumVgprs: 0
; ScratchSize: 0
; MemoryBound: 0
; FloatMode: 240
; IeeeMode: 1
; LDSByteSize: 0 bytes/workgroup (compile time only)
; SGPRBlocks: 0
; VGPRBlocks: 0
; NumSGPRsForWavesPerEU: 1
; NumVGPRsForWavesPerEU: 1
; Occupancy: 16
; WaveLimiterHint : 0
; COMPUTE_PGM_RSRC2:SCRATCH_EN: 0
; COMPUTE_PGM_RSRC2:USER_SGPR: 15
; COMPUTE_PGM_RSRC2:TRAP_HANDLER: 0
; COMPUTE_PGM_RSRC2:TGID_X_EN: 1
; COMPUTE_PGM_RSRC2:TGID_Y_EN: 0
; COMPUTE_PGM_RSRC2:TGID_Z_EN: 0
; COMPUTE_PGM_RSRC2:TIDIG_COMP_CNT: 0
	.section	.text._ZN6thrust23THRUST_200600_302600_NS11hip_rocprim14__parallel_for6kernelILj256ENS1_11__transform17unary_transform_fINS0_20permutation_iteratorINS0_6detail15normal_iteratorINS0_10device_ptrIcEEEENS8_INS9_IiEEEEEESB_NS4_14no_stencil_tagENS1_8identityENS4_21always_true_predicateEEElLj1EEEvT0_T1_SK_,"axG",@progbits,_ZN6thrust23THRUST_200600_302600_NS11hip_rocprim14__parallel_for6kernelILj256ENS1_11__transform17unary_transform_fINS0_20permutation_iteratorINS0_6detail15normal_iteratorINS0_10device_ptrIcEEEENS8_INS9_IiEEEEEESB_NS4_14no_stencil_tagENS1_8identityENS4_21always_true_predicateEEElLj1EEEvT0_T1_SK_,comdat
	.protected	_ZN6thrust23THRUST_200600_302600_NS11hip_rocprim14__parallel_for6kernelILj256ENS1_11__transform17unary_transform_fINS0_20permutation_iteratorINS0_6detail15normal_iteratorINS0_10device_ptrIcEEEENS8_INS9_IiEEEEEESB_NS4_14no_stencil_tagENS1_8identityENS4_21always_true_predicateEEElLj1EEEvT0_T1_SK_ ; -- Begin function _ZN6thrust23THRUST_200600_302600_NS11hip_rocprim14__parallel_for6kernelILj256ENS1_11__transform17unary_transform_fINS0_20permutation_iteratorINS0_6detail15normal_iteratorINS0_10device_ptrIcEEEENS8_INS9_IiEEEEEESB_NS4_14no_stencil_tagENS1_8identityENS4_21always_true_predicateEEElLj1EEEvT0_T1_SK_
	.globl	_ZN6thrust23THRUST_200600_302600_NS11hip_rocprim14__parallel_for6kernelILj256ENS1_11__transform17unary_transform_fINS0_20permutation_iteratorINS0_6detail15normal_iteratorINS0_10device_ptrIcEEEENS8_INS9_IiEEEEEESB_NS4_14no_stencil_tagENS1_8identityENS4_21always_true_predicateEEElLj1EEEvT0_T1_SK_
	.p2align	8
	.type	_ZN6thrust23THRUST_200600_302600_NS11hip_rocprim14__parallel_for6kernelILj256ENS1_11__transform17unary_transform_fINS0_20permutation_iteratorINS0_6detail15normal_iteratorINS0_10device_ptrIcEEEENS8_INS9_IiEEEEEESB_NS4_14no_stencil_tagENS1_8identityENS4_21always_true_predicateEEElLj1EEEvT0_T1_SK_,@function
_ZN6thrust23THRUST_200600_302600_NS11hip_rocprim14__parallel_for6kernelILj256ENS1_11__transform17unary_transform_fINS0_20permutation_iteratorINS0_6detail15normal_iteratorINS0_10device_ptrIcEEEENS8_INS9_IiEEEEEESB_NS4_14no_stencil_tagENS1_8identityENS4_21always_true_predicateEEElLj1EEEvT0_T1_SK_: ; @_ZN6thrust23THRUST_200600_302600_NS11hip_rocprim14__parallel_for6kernelILj256ENS1_11__transform17unary_transform_fINS0_20permutation_iteratorINS0_6detail15normal_iteratorINS0_10device_ptrIcEEEENS8_INS9_IiEEEEEESB_NS4_14no_stencil_tagENS1_8identityENS4_21always_true_predicateEEElLj1EEEvT0_T1_SK_
; %bb.0:
	s_load_b128 s[4:7], s[0:1], 0x20
	s_lshl_b32 s2, s15, 8
	s_waitcnt lgkmcnt(0)
	s_add_u32 s2, s2, s6
	s_addc_u32 s3, 0, s7
	s_sub_u32 s4, s4, s2
	s_subb_u32 s5, s5, s3
	s_delay_alu instid0(SALU_CYCLE_1) | instskip(NEXT) | instid1(VALU_DEP_1)
	v_cmp_gt_i64_e64 s5, 0x100, s[4:5]
	s_and_b32 s5, s5, exec_lo
	s_cselect_b32 s4, s4, 0x100
	s_delay_alu instid0(SALU_CYCLE_1) | instskip(SKIP_2) | instid1(SALU_CYCLE_1)
	v_cmp_gt_u32_e32 vcc_lo, s4, v0
	s_cmpk_eq_i32 s4, 0x100
	s_cselect_b32 s4, -1, 0
	s_or_b32 s4, s4, vcc_lo
	s_delay_alu instid0(SALU_CYCLE_1)
	s_and_saveexec_b32 s5, s4
	s_cbranch_execz .LBB95_2
; %bb.1:
	s_load_b128 s[4:7], s[0:1], 0x0
	v_add_co_u32 v0, s2, s2, v0
	s_delay_alu instid0(VALU_DEP_1) | instskip(SKIP_1) | instid1(VALU_DEP_1)
	v_add_co_ci_u32_e64 v1, null, s3, 0, s2
	s_load_b64 s[0:1], s[0:1], 0x10
	v_lshlrev_b64 v[2:3], 2, v[0:1]
	s_waitcnt lgkmcnt(0)
	s_delay_alu instid0(VALU_DEP_1) | instskip(NEXT) | instid1(VALU_DEP_2)
	v_add_co_u32 v2, vcc_lo, s4, v2
	v_add_co_ci_u32_e32 v3, vcc_lo, s5, v3, vcc_lo
	global_load_b32 v2, v[2:3], off
	s_waitcnt vmcnt(0)
	v_ashrrev_i32_e32 v3, 31, v2
	v_add_co_u32 v2, vcc_lo, s6, v2
	s_delay_alu instid0(VALU_DEP_2)
	v_add_co_ci_u32_e32 v3, vcc_lo, s7, v3, vcc_lo
	v_add_co_u32 v0, vcc_lo, s0, v0
	v_add_co_ci_u32_e32 v1, vcc_lo, s1, v1, vcc_lo
	global_load_u8 v2, v[2:3], off
	s_waitcnt vmcnt(0)
	flat_store_b8 v[0:1], v2
.LBB95_2:
	s_endpgm
	.section	.rodata,"a",@progbits
	.p2align	6, 0x0
	.amdhsa_kernel _ZN6thrust23THRUST_200600_302600_NS11hip_rocprim14__parallel_for6kernelILj256ENS1_11__transform17unary_transform_fINS0_20permutation_iteratorINS0_6detail15normal_iteratorINS0_10device_ptrIcEEEENS8_INS9_IiEEEEEESB_NS4_14no_stencil_tagENS1_8identityENS4_21always_true_predicateEEElLj1EEEvT0_T1_SK_
		.amdhsa_group_segment_fixed_size 0
		.amdhsa_private_segment_fixed_size 0
		.amdhsa_kernarg_size 48
		.amdhsa_user_sgpr_count 15
		.amdhsa_user_sgpr_dispatch_ptr 0
		.amdhsa_user_sgpr_queue_ptr 0
		.amdhsa_user_sgpr_kernarg_segment_ptr 1
		.amdhsa_user_sgpr_dispatch_id 0
		.amdhsa_user_sgpr_private_segment_size 0
		.amdhsa_wavefront_size32 1
		.amdhsa_uses_dynamic_stack 0
		.amdhsa_enable_private_segment 0
		.amdhsa_system_sgpr_workgroup_id_x 1
		.amdhsa_system_sgpr_workgroup_id_y 0
		.amdhsa_system_sgpr_workgroup_id_z 0
		.amdhsa_system_sgpr_workgroup_info 0
		.amdhsa_system_vgpr_workitem_id 0
		.amdhsa_next_free_vgpr 4
		.amdhsa_next_free_sgpr 16
		.amdhsa_reserve_vcc 1
		.amdhsa_float_round_mode_32 0
		.amdhsa_float_round_mode_16_64 0
		.amdhsa_float_denorm_mode_32 3
		.amdhsa_float_denorm_mode_16_64 3
		.amdhsa_dx10_clamp 1
		.amdhsa_ieee_mode 1
		.amdhsa_fp16_overflow 0
		.amdhsa_workgroup_processor_mode 1
		.amdhsa_memory_ordered 1
		.amdhsa_forward_progress 0
		.amdhsa_shared_vgpr_count 0
		.amdhsa_exception_fp_ieee_invalid_op 0
		.amdhsa_exception_fp_denorm_src 0
		.amdhsa_exception_fp_ieee_div_zero 0
		.amdhsa_exception_fp_ieee_overflow 0
		.amdhsa_exception_fp_ieee_underflow 0
		.amdhsa_exception_fp_ieee_inexact 0
		.amdhsa_exception_int_div_zero 0
	.end_amdhsa_kernel
	.section	.text._ZN6thrust23THRUST_200600_302600_NS11hip_rocprim14__parallel_for6kernelILj256ENS1_11__transform17unary_transform_fINS0_20permutation_iteratorINS0_6detail15normal_iteratorINS0_10device_ptrIcEEEENS8_INS9_IiEEEEEESB_NS4_14no_stencil_tagENS1_8identityENS4_21always_true_predicateEEElLj1EEEvT0_T1_SK_,"axG",@progbits,_ZN6thrust23THRUST_200600_302600_NS11hip_rocprim14__parallel_for6kernelILj256ENS1_11__transform17unary_transform_fINS0_20permutation_iteratorINS0_6detail15normal_iteratorINS0_10device_ptrIcEEEENS8_INS9_IiEEEEEESB_NS4_14no_stencil_tagENS1_8identityENS4_21always_true_predicateEEElLj1EEEvT0_T1_SK_,comdat
.Lfunc_end95:
	.size	_ZN6thrust23THRUST_200600_302600_NS11hip_rocprim14__parallel_for6kernelILj256ENS1_11__transform17unary_transform_fINS0_20permutation_iteratorINS0_6detail15normal_iteratorINS0_10device_ptrIcEEEENS8_INS9_IiEEEEEESB_NS4_14no_stencil_tagENS1_8identityENS4_21always_true_predicateEEElLj1EEEvT0_T1_SK_, .Lfunc_end95-_ZN6thrust23THRUST_200600_302600_NS11hip_rocprim14__parallel_for6kernelILj256ENS1_11__transform17unary_transform_fINS0_20permutation_iteratorINS0_6detail15normal_iteratorINS0_10device_ptrIcEEEENS8_INS9_IiEEEEEESB_NS4_14no_stencil_tagENS1_8identityENS4_21always_true_predicateEEElLj1EEEvT0_T1_SK_
                                        ; -- End function
	.section	.AMDGPU.csdata,"",@progbits
; Kernel info:
; codeLenInByte = 224
; NumSgprs: 18
; NumVgprs: 4
; ScratchSize: 0
; MemoryBound: 0
; FloatMode: 240
; IeeeMode: 1
; LDSByteSize: 0 bytes/workgroup (compile time only)
; SGPRBlocks: 2
; VGPRBlocks: 0
; NumSGPRsForWavesPerEU: 18
; NumVGPRsForWavesPerEU: 4
; Occupancy: 16
; WaveLimiterHint : 1
; COMPUTE_PGM_RSRC2:SCRATCH_EN: 0
; COMPUTE_PGM_RSRC2:USER_SGPR: 15
; COMPUTE_PGM_RSRC2:TRAP_HANDLER: 0
; COMPUTE_PGM_RSRC2:TGID_X_EN: 1
; COMPUTE_PGM_RSRC2:TGID_Y_EN: 0
; COMPUTE_PGM_RSRC2:TGID_Z_EN: 0
; COMPUTE_PGM_RSRC2:TIDIG_COMP_CNT: 0
	.section	.text._ZN6thrust23THRUST_200600_302600_NS11hip_rocprim14__parallel_for6kernelILj256ENS1_20__uninitialized_copy7functorINS0_6detail15normal_iteratorINS0_10device_ptrIcEEEENS0_7pointerIcNS1_3tagENS0_11use_defaultESD_EEEEmLj1EEEvT0_T1_SH_,"axG",@progbits,_ZN6thrust23THRUST_200600_302600_NS11hip_rocprim14__parallel_for6kernelILj256ENS1_20__uninitialized_copy7functorINS0_6detail15normal_iteratorINS0_10device_ptrIcEEEENS0_7pointerIcNS1_3tagENS0_11use_defaultESD_EEEEmLj1EEEvT0_T1_SH_,comdat
	.protected	_ZN6thrust23THRUST_200600_302600_NS11hip_rocprim14__parallel_for6kernelILj256ENS1_20__uninitialized_copy7functorINS0_6detail15normal_iteratorINS0_10device_ptrIcEEEENS0_7pointerIcNS1_3tagENS0_11use_defaultESD_EEEEmLj1EEEvT0_T1_SH_ ; -- Begin function _ZN6thrust23THRUST_200600_302600_NS11hip_rocprim14__parallel_for6kernelILj256ENS1_20__uninitialized_copy7functorINS0_6detail15normal_iteratorINS0_10device_ptrIcEEEENS0_7pointerIcNS1_3tagENS0_11use_defaultESD_EEEEmLj1EEEvT0_T1_SH_
	.globl	_ZN6thrust23THRUST_200600_302600_NS11hip_rocprim14__parallel_for6kernelILj256ENS1_20__uninitialized_copy7functorINS0_6detail15normal_iteratorINS0_10device_ptrIcEEEENS0_7pointerIcNS1_3tagENS0_11use_defaultESD_EEEEmLj1EEEvT0_T1_SH_
	.p2align	8
	.type	_ZN6thrust23THRUST_200600_302600_NS11hip_rocprim14__parallel_for6kernelILj256ENS1_20__uninitialized_copy7functorINS0_6detail15normal_iteratorINS0_10device_ptrIcEEEENS0_7pointerIcNS1_3tagENS0_11use_defaultESD_EEEEmLj1EEEvT0_T1_SH_,@function
_ZN6thrust23THRUST_200600_302600_NS11hip_rocprim14__parallel_for6kernelILj256ENS1_20__uninitialized_copy7functorINS0_6detail15normal_iteratorINS0_10device_ptrIcEEEENS0_7pointerIcNS1_3tagENS0_11use_defaultESD_EEEEmLj1EEEvT0_T1_SH_: ; @_ZN6thrust23THRUST_200600_302600_NS11hip_rocprim14__parallel_for6kernelILj256ENS1_20__uninitialized_copy7functorINS0_6detail15normal_iteratorINS0_10device_ptrIcEEEENS0_7pointerIcNS1_3tagENS0_11use_defaultESD_EEEEmLj1EEEvT0_T1_SH_
; %bb.0:
	s_load_b256 s[0:7], s[0:1], 0x0
	s_lshl_b32 s8, s15, 8
	s_waitcnt lgkmcnt(0)
	s_add_u32 s6, s8, s6
	s_addc_u32 s7, 0, s7
	s_sub_u32 s4, s4, s6
	s_subb_u32 s5, s5, s7
	s_delay_alu instid0(SALU_CYCLE_1) | instskip(NEXT) | instid1(VALU_DEP_1)
	v_cmp_gt_u64_e64 s5, 0x100, s[4:5]
	s_and_b32 vcc_lo, exec_lo, s5
	s_mov_b32 s5, 0
	s_cbranch_vccz .LBB96_4
; %bb.1:
	v_cmp_gt_u32_e32 vcc_lo, s4, v0
	s_mov_b32 s4, 0
                                        ; implicit-def: $vgpr1_vgpr2
                                        ; implicit-def: $vgpr3_vgpr4
	s_and_saveexec_b32 s8, vcc_lo
	s_delay_alu instid0(SALU_CYCLE_1)
	s_xor_b32 s8, exec_lo, s8
; %bb.2:
	v_add_co_u32 v3, s9, s6, v0
	s_delay_alu instid0(VALU_DEP_1) | instskip(SKIP_1) | instid1(VALU_DEP_2)
	v_add_co_ci_u32_e64 v4, null, s7, 0, s9
	s_mov_b32 s5, exec_lo
	v_add_co_u32 v1, vcc_lo, s2, v3
	s_delay_alu instid0(VALU_DEP_2)
	v_add_co_ci_u32_e32 v2, vcc_lo, s3, v4, vcc_lo
	v_add_co_u32 v3, vcc_lo, s0, v3
	v_add_co_ci_u32_e32 v4, vcc_lo, s1, v4, vcc_lo
; %bb.3:
	s_or_b32 exec_lo, exec_lo, s8
	s_delay_alu instid0(SALU_CYCLE_1)
	s_and_b32 vcc_lo, exec_lo, s4
	s_cbranch_vccnz .LBB96_5
	s_branch .LBB96_6
.LBB96_4:
                                        ; implicit-def: $vgpr1_vgpr2
                                        ; implicit-def: $vgpr3_vgpr4
	s_cbranch_execz .LBB96_6
.LBB96_5:
	v_add_co_u32 v0, s4, s6, v0
	s_delay_alu instid0(VALU_DEP_1) | instskip(SKIP_1) | instid1(VALU_DEP_2)
	v_add_co_ci_u32_e64 v2, null, s7, 0, s4
	s_or_b32 s5, s5, exec_lo
	v_add_co_u32 v3, vcc_lo, s0, v0
	s_delay_alu instid0(VALU_DEP_2)
	v_add_co_ci_u32_e32 v4, vcc_lo, s1, v2, vcc_lo
	v_add_co_u32 v1, vcc_lo, s2, v0
	v_add_co_ci_u32_e32 v2, vcc_lo, s3, v2, vcc_lo
.LBB96_6:
	s_and_saveexec_b32 s0, s5
	s_cbranch_execnz .LBB96_8
; %bb.7:
	s_endpgm
.LBB96_8:
	flat_load_u8 v0, v[3:4]
	s_waitcnt vmcnt(0) lgkmcnt(0)
	flat_store_b8 v[1:2], v0
	s_endpgm
	.section	.rodata,"a",@progbits
	.p2align	6, 0x0
	.amdhsa_kernel _ZN6thrust23THRUST_200600_302600_NS11hip_rocprim14__parallel_for6kernelILj256ENS1_20__uninitialized_copy7functorINS0_6detail15normal_iteratorINS0_10device_ptrIcEEEENS0_7pointerIcNS1_3tagENS0_11use_defaultESD_EEEEmLj1EEEvT0_T1_SH_
		.amdhsa_group_segment_fixed_size 0
		.amdhsa_private_segment_fixed_size 0
		.amdhsa_kernarg_size 32
		.amdhsa_user_sgpr_count 15
		.amdhsa_user_sgpr_dispatch_ptr 0
		.amdhsa_user_sgpr_queue_ptr 0
		.amdhsa_user_sgpr_kernarg_segment_ptr 1
		.amdhsa_user_sgpr_dispatch_id 0
		.amdhsa_user_sgpr_private_segment_size 0
		.amdhsa_wavefront_size32 1
		.amdhsa_uses_dynamic_stack 0
		.amdhsa_enable_private_segment 0
		.amdhsa_system_sgpr_workgroup_id_x 1
		.amdhsa_system_sgpr_workgroup_id_y 0
		.amdhsa_system_sgpr_workgroup_id_z 0
		.amdhsa_system_sgpr_workgroup_info 0
		.amdhsa_system_vgpr_workitem_id 0
		.amdhsa_next_free_vgpr 5
		.amdhsa_next_free_sgpr 16
		.amdhsa_reserve_vcc 1
		.amdhsa_float_round_mode_32 0
		.amdhsa_float_round_mode_16_64 0
		.amdhsa_float_denorm_mode_32 3
		.amdhsa_float_denorm_mode_16_64 3
		.amdhsa_dx10_clamp 1
		.amdhsa_ieee_mode 1
		.amdhsa_fp16_overflow 0
		.amdhsa_workgroup_processor_mode 1
		.amdhsa_memory_ordered 1
		.amdhsa_forward_progress 0
		.amdhsa_shared_vgpr_count 0
		.amdhsa_exception_fp_ieee_invalid_op 0
		.amdhsa_exception_fp_denorm_src 0
		.amdhsa_exception_fp_ieee_div_zero 0
		.amdhsa_exception_fp_ieee_overflow 0
		.amdhsa_exception_fp_ieee_underflow 0
		.amdhsa_exception_fp_ieee_inexact 0
		.amdhsa_exception_int_div_zero 0
	.end_amdhsa_kernel
	.section	.text._ZN6thrust23THRUST_200600_302600_NS11hip_rocprim14__parallel_for6kernelILj256ENS1_20__uninitialized_copy7functorINS0_6detail15normal_iteratorINS0_10device_ptrIcEEEENS0_7pointerIcNS1_3tagENS0_11use_defaultESD_EEEEmLj1EEEvT0_T1_SH_,"axG",@progbits,_ZN6thrust23THRUST_200600_302600_NS11hip_rocprim14__parallel_for6kernelILj256ENS1_20__uninitialized_copy7functorINS0_6detail15normal_iteratorINS0_10device_ptrIcEEEENS0_7pointerIcNS1_3tagENS0_11use_defaultESD_EEEEmLj1EEEvT0_T1_SH_,comdat
.Lfunc_end96:
	.size	_ZN6thrust23THRUST_200600_302600_NS11hip_rocprim14__parallel_for6kernelILj256ENS1_20__uninitialized_copy7functorINS0_6detail15normal_iteratorINS0_10device_ptrIcEEEENS0_7pointerIcNS1_3tagENS0_11use_defaultESD_EEEEmLj1EEEvT0_T1_SH_, .Lfunc_end96-_ZN6thrust23THRUST_200600_302600_NS11hip_rocprim14__parallel_for6kernelILj256ENS1_20__uninitialized_copy7functorINS0_6detail15normal_iteratorINS0_10device_ptrIcEEEENS0_7pointerIcNS1_3tagENS0_11use_defaultESD_EEEEmLj1EEEvT0_T1_SH_
                                        ; -- End function
	.section	.AMDGPU.csdata,"",@progbits
; Kernel info:
; codeLenInByte = 244
; NumSgprs: 18
; NumVgprs: 5
; ScratchSize: 0
; MemoryBound: 0
; FloatMode: 240
; IeeeMode: 1
; LDSByteSize: 0 bytes/workgroup (compile time only)
; SGPRBlocks: 2
; VGPRBlocks: 0
; NumSGPRsForWavesPerEU: 18
; NumVGPRsForWavesPerEU: 5
; Occupancy: 16
; WaveLimiterHint : 0
; COMPUTE_PGM_RSRC2:SCRATCH_EN: 0
; COMPUTE_PGM_RSRC2:USER_SGPR: 15
; COMPUTE_PGM_RSRC2:TRAP_HANDLER: 0
; COMPUTE_PGM_RSRC2:TGID_X_EN: 1
; COMPUTE_PGM_RSRC2:TGID_Y_EN: 0
; COMPUTE_PGM_RSRC2:TGID_Z_EN: 0
; COMPUTE_PGM_RSRC2:TIDIG_COMP_CNT: 0
	.text
	.p2alignl 7, 3214868480
	.fill 96, 4, 3214868480
	.type	__hip_cuid_8d5df7546acbb838,@object ; @__hip_cuid_8d5df7546acbb838
	.section	.bss,"aw",@nobits
	.globl	__hip_cuid_8d5df7546acbb838
__hip_cuid_8d5df7546acbb838:
	.byte	0                               ; 0x0
	.size	__hip_cuid_8d5df7546acbb838, 1

	.ident	"AMD clang version 19.0.0git (https://github.com/RadeonOpenCompute/llvm-project roc-6.4.0 25133 c7fe45cf4b819c5991fe208aaa96edf142730f1d)"
	.section	".note.GNU-stack","",@progbits
	.addrsig
	.addrsig_sym __hip_cuid_8d5df7546acbb838
	.amdgpu_metadata
---
amdhsa.kernels:
  - .args:
      - .offset:         0
        .size:           16
        .value_kind:     by_value
      - .offset:         16
        .size:           8
        .value_kind:     by_value
      - .offset:         24
        .size:           8
        .value_kind:     by_value
    .group_segment_fixed_size: 0
    .kernarg_segment_align: 8
    .kernarg_segment_size: 32
    .language:       OpenCL C
    .language_version:
      - 2
      - 0
    .max_flat_workgroup_size: 256
    .name:           _ZN6thrust23THRUST_200600_302600_NS11hip_rocprim14__parallel_for6kernelILj256ENS1_20__uninitialized_fill7functorINS0_10device_ptrIcEEcEEmLj1EEEvT0_T1_SA_
    .private_segment_fixed_size: 0
    .sgpr_count:     18
    .sgpr_spill_count: 0
    .symbol:         _ZN6thrust23THRUST_200600_302600_NS11hip_rocprim14__parallel_for6kernelILj256ENS1_20__uninitialized_fill7functorINS0_10device_ptrIcEEcEEmLj1EEEvT0_T1_SA_.kd
    .uniform_work_group_size: 1
    .uses_dynamic_stack: false
    .vgpr_count:     3
    .vgpr_spill_count: 0
    .wavefront_size: 32
    .workgroup_processor_mode: 1
  - .args:
      - .offset:         0
        .size:           16
        .value_kind:     by_value
      - .offset:         16
        .size:           8
        .value_kind:     by_value
      - .offset:         24
        .size:           8
        .value_kind:     by_value
    .group_segment_fixed_size: 0
    .kernarg_segment_align: 8
    .kernarg_segment_size: 32
    .language:       OpenCL C
    .language_version:
      - 2
      - 0
    .max_flat_workgroup_size: 256
    .name:           _ZN6thrust23THRUST_200600_302600_NS11hip_rocprim14__parallel_for6kernelILj256ENS1_20__uninitialized_fill7functorINS0_10device_ptrIiEEiEEmLj1EEEvT0_T1_SA_
    .private_segment_fixed_size: 0
    .sgpr_count:     18
    .sgpr_spill_count: 0
    .symbol:         _ZN6thrust23THRUST_200600_302600_NS11hip_rocprim14__parallel_for6kernelILj256ENS1_20__uninitialized_fill7functorINS0_10device_ptrIiEEiEEmLj1EEEvT0_T1_SA_.kd
    .uniform_work_group_size: 1
    .uses_dynamic_stack: false
    .vgpr_count:     3
    .vgpr_spill_count: 0
    .wavefront_size: 32
    .workgroup_processor_mode: 1
  - .args:
      - .address_space:  global
        .offset:         0
        .size:           8
        .value_kind:     global_buffer
      - .offset:         8
        .size:           4
        .value_kind:     by_value
      - .offset:         12
        .size:           1
        .value_kind:     by_value
      - .offset:         16
        .size:           4
        .value_kind:     by_value
      - .address_space:  global
        .offset:         24
        .size:           8
        .value_kind:     global_buffer
      - .offset:         32
        .size:           4
        .value_kind:     hidden_block_count_x
      - .offset:         36
        .size:           4
        .value_kind:     hidden_block_count_y
      - .offset:         40
        .size:           4
        .value_kind:     hidden_block_count_z
      - .offset:         44
        .size:           2
        .value_kind:     hidden_group_size_x
      - .offset:         46
        .size:           2
        .value_kind:     hidden_group_size_y
      - .offset:         48
        .size:           2
        .value_kind:     hidden_group_size_z
      - .offset:         50
        .size:           2
        .value_kind:     hidden_remainder_x
      - .offset:         52
        .size:           2
        .value_kind:     hidden_remainder_y
      - .offset:         54
        .size:           2
        .value_kind:     hidden_remainder_z
      - .offset:         72
        .size:           8
        .value_kind:     hidden_global_offset_x
      - .offset:         80
        .size:           8
        .value_kind:     hidden_global_offset_y
      - .offset:         88
        .size:           8
        .value_kind:     hidden_global_offset_z
      - .offset:         96
        .size:           2
        .value_kind:     hidden_grid_dims
    .group_segment_fixed_size: 0
    .kernarg_segment_align: 8
    .kernarg_segment_size: 288
    .language:       OpenCL C
    .language_version:
      - 2
      - 0
    .max_flat_workgroup_size: 256
    .name:           _ZN7rocprim17ROCPRIM_400000_NS6detail31init_lookback_scan_state_kernelINS1_19lookback_scan_stateIiLb0ELb1EEENS1_16block_id_wrapperIjLb0EEEEEvT_jT0_jPNS7_10value_typeE
    .private_segment_fixed_size: 0
    .sgpr_count:     18
    .sgpr_spill_count: 0
    .symbol:         _ZN7rocprim17ROCPRIM_400000_NS6detail31init_lookback_scan_state_kernelINS1_19lookback_scan_stateIiLb0ELb1EEENS1_16block_id_wrapperIjLb0EEEEEvT_jT0_jPNS7_10value_typeE.kd
    .uniform_work_group_size: 1
    .uses_dynamic_stack: false
    .vgpr_count:     6
    .vgpr_spill_count: 0
    .wavefront_size: 32
    .workgroup_processor_mode: 1
  - .args:
      - .offset:         0
        .size:           96
        .value_kind:     by_value
    .group_segment_fixed_size: 0
    .kernarg_segment_align: 8
    .kernarg_segment_size: 96
    .language:       OpenCL C
    .language_version:
      - 2
      - 0
    .max_flat_workgroup_size: 256
    .name:           _ZN7rocprim17ROCPRIM_400000_NS6detail17trampoline_kernelINS0_14default_configENS1_20scan_config_selectorIiEEZZNS1_9scan_implILNS1_25lookback_scan_determinismE0ELb0ELb0ES3_N6thrust23THRUST_200600_302600_NS6detail15normal_iteratorINS9_10device_ptrIiEEEESE_iNS9_4plusIvEEiEEDaPvRmT3_T4_T5_mT6_P12ihipStream_tbENKUlT_T0_E_clISt17integral_constantIbLb0EESU_EEDaSP_SQ_EUlSP_E_NS1_11comp_targetILNS1_3genE0ELNS1_11target_archE4294967295ELNS1_3gpuE0ELNS1_3repE0EEENS1_30default_config_static_selectorELNS0_4arch9wavefront6targetE0EEEvT1_
    .private_segment_fixed_size: 0
    .sgpr_count:     0
    .sgpr_spill_count: 0
    .symbol:         _ZN7rocprim17ROCPRIM_400000_NS6detail17trampoline_kernelINS0_14default_configENS1_20scan_config_selectorIiEEZZNS1_9scan_implILNS1_25lookback_scan_determinismE0ELb0ELb0ES3_N6thrust23THRUST_200600_302600_NS6detail15normal_iteratorINS9_10device_ptrIiEEEESE_iNS9_4plusIvEEiEEDaPvRmT3_T4_T5_mT6_P12ihipStream_tbENKUlT_T0_E_clISt17integral_constantIbLb0EESU_EEDaSP_SQ_EUlSP_E_NS1_11comp_targetILNS1_3genE0ELNS1_11target_archE4294967295ELNS1_3gpuE0ELNS1_3repE0EEENS1_30default_config_static_selectorELNS0_4arch9wavefront6targetE0EEEvT1_.kd
    .uniform_work_group_size: 1
    .uses_dynamic_stack: false
    .vgpr_count:     0
    .vgpr_spill_count: 0
    .wavefront_size: 32
    .workgroup_processor_mode: 1
  - .args:
      - .offset:         0
        .size:           96
        .value_kind:     by_value
    .group_segment_fixed_size: 0
    .kernarg_segment_align: 8
    .kernarg_segment_size: 96
    .language:       OpenCL C
    .language_version:
      - 2
      - 0
    .max_flat_workgroup_size: 256
    .name:           _ZN7rocprim17ROCPRIM_400000_NS6detail17trampoline_kernelINS0_14default_configENS1_20scan_config_selectorIiEEZZNS1_9scan_implILNS1_25lookback_scan_determinismE0ELb0ELb0ES3_N6thrust23THRUST_200600_302600_NS6detail15normal_iteratorINS9_10device_ptrIiEEEESE_iNS9_4plusIvEEiEEDaPvRmT3_T4_T5_mT6_P12ihipStream_tbENKUlT_T0_E_clISt17integral_constantIbLb0EESU_EEDaSP_SQ_EUlSP_E_NS1_11comp_targetILNS1_3genE5ELNS1_11target_archE942ELNS1_3gpuE9ELNS1_3repE0EEENS1_30default_config_static_selectorELNS0_4arch9wavefront6targetE0EEEvT1_
    .private_segment_fixed_size: 0
    .sgpr_count:     0
    .sgpr_spill_count: 0
    .symbol:         _ZN7rocprim17ROCPRIM_400000_NS6detail17trampoline_kernelINS0_14default_configENS1_20scan_config_selectorIiEEZZNS1_9scan_implILNS1_25lookback_scan_determinismE0ELb0ELb0ES3_N6thrust23THRUST_200600_302600_NS6detail15normal_iteratorINS9_10device_ptrIiEEEESE_iNS9_4plusIvEEiEEDaPvRmT3_T4_T5_mT6_P12ihipStream_tbENKUlT_T0_E_clISt17integral_constantIbLb0EESU_EEDaSP_SQ_EUlSP_E_NS1_11comp_targetILNS1_3genE5ELNS1_11target_archE942ELNS1_3gpuE9ELNS1_3repE0EEENS1_30default_config_static_selectorELNS0_4arch9wavefront6targetE0EEEvT1_.kd
    .uniform_work_group_size: 1
    .uses_dynamic_stack: false
    .vgpr_count:     0
    .vgpr_spill_count: 0
    .wavefront_size: 32
    .workgroup_processor_mode: 1
  - .args:
      - .offset:         0
        .size:           96
        .value_kind:     by_value
    .group_segment_fixed_size: 0
    .kernarg_segment_align: 8
    .kernarg_segment_size: 96
    .language:       OpenCL C
    .language_version:
      - 2
      - 0
    .max_flat_workgroup_size: 128
    .name:           _ZN7rocprim17ROCPRIM_400000_NS6detail17trampoline_kernelINS0_14default_configENS1_20scan_config_selectorIiEEZZNS1_9scan_implILNS1_25lookback_scan_determinismE0ELb0ELb0ES3_N6thrust23THRUST_200600_302600_NS6detail15normal_iteratorINS9_10device_ptrIiEEEESE_iNS9_4plusIvEEiEEDaPvRmT3_T4_T5_mT6_P12ihipStream_tbENKUlT_T0_E_clISt17integral_constantIbLb0EESU_EEDaSP_SQ_EUlSP_E_NS1_11comp_targetILNS1_3genE4ELNS1_11target_archE910ELNS1_3gpuE8ELNS1_3repE0EEENS1_30default_config_static_selectorELNS0_4arch9wavefront6targetE0EEEvT1_
    .private_segment_fixed_size: 0
    .sgpr_count:     0
    .sgpr_spill_count: 0
    .symbol:         _ZN7rocprim17ROCPRIM_400000_NS6detail17trampoline_kernelINS0_14default_configENS1_20scan_config_selectorIiEEZZNS1_9scan_implILNS1_25lookback_scan_determinismE0ELb0ELb0ES3_N6thrust23THRUST_200600_302600_NS6detail15normal_iteratorINS9_10device_ptrIiEEEESE_iNS9_4plusIvEEiEEDaPvRmT3_T4_T5_mT6_P12ihipStream_tbENKUlT_T0_E_clISt17integral_constantIbLb0EESU_EEDaSP_SQ_EUlSP_E_NS1_11comp_targetILNS1_3genE4ELNS1_11target_archE910ELNS1_3gpuE8ELNS1_3repE0EEENS1_30default_config_static_selectorELNS0_4arch9wavefront6targetE0EEEvT1_.kd
    .uniform_work_group_size: 1
    .uses_dynamic_stack: false
    .vgpr_count:     0
    .vgpr_spill_count: 0
    .wavefront_size: 32
    .workgroup_processor_mode: 1
  - .args:
      - .offset:         0
        .size:           96
        .value_kind:     by_value
    .group_segment_fixed_size: 0
    .kernarg_segment_align: 8
    .kernarg_segment_size: 96
    .language:       OpenCL C
    .language_version:
      - 2
      - 0
    .max_flat_workgroup_size: 256
    .name:           _ZN7rocprim17ROCPRIM_400000_NS6detail17trampoline_kernelINS0_14default_configENS1_20scan_config_selectorIiEEZZNS1_9scan_implILNS1_25lookback_scan_determinismE0ELb0ELb0ES3_N6thrust23THRUST_200600_302600_NS6detail15normal_iteratorINS9_10device_ptrIiEEEESE_iNS9_4plusIvEEiEEDaPvRmT3_T4_T5_mT6_P12ihipStream_tbENKUlT_T0_E_clISt17integral_constantIbLb0EESU_EEDaSP_SQ_EUlSP_E_NS1_11comp_targetILNS1_3genE3ELNS1_11target_archE908ELNS1_3gpuE7ELNS1_3repE0EEENS1_30default_config_static_selectorELNS0_4arch9wavefront6targetE0EEEvT1_
    .private_segment_fixed_size: 0
    .sgpr_count:     0
    .sgpr_spill_count: 0
    .symbol:         _ZN7rocprim17ROCPRIM_400000_NS6detail17trampoline_kernelINS0_14default_configENS1_20scan_config_selectorIiEEZZNS1_9scan_implILNS1_25lookback_scan_determinismE0ELb0ELb0ES3_N6thrust23THRUST_200600_302600_NS6detail15normal_iteratorINS9_10device_ptrIiEEEESE_iNS9_4plusIvEEiEEDaPvRmT3_T4_T5_mT6_P12ihipStream_tbENKUlT_T0_E_clISt17integral_constantIbLb0EESU_EEDaSP_SQ_EUlSP_E_NS1_11comp_targetILNS1_3genE3ELNS1_11target_archE908ELNS1_3gpuE7ELNS1_3repE0EEENS1_30default_config_static_selectorELNS0_4arch9wavefront6targetE0EEEvT1_.kd
    .uniform_work_group_size: 1
    .uses_dynamic_stack: false
    .vgpr_count:     0
    .vgpr_spill_count: 0
    .wavefront_size: 32
    .workgroup_processor_mode: 1
  - .args:
      - .offset:         0
        .size:           96
        .value_kind:     by_value
    .group_segment_fixed_size: 0
    .kernarg_segment_align: 8
    .kernarg_segment_size: 96
    .language:       OpenCL C
    .language_version:
      - 2
      - 0
    .max_flat_workgroup_size: 256
    .name:           _ZN7rocprim17ROCPRIM_400000_NS6detail17trampoline_kernelINS0_14default_configENS1_20scan_config_selectorIiEEZZNS1_9scan_implILNS1_25lookback_scan_determinismE0ELb0ELb0ES3_N6thrust23THRUST_200600_302600_NS6detail15normal_iteratorINS9_10device_ptrIiEEEESE_iNS9_4plusIvEEiEEDaPvRmT3_T4_T5_mT6_P12ihipStream_tbENKUlT_T0_E_clISt17integral_constantIbLb0EESU_EEDaSP_SQ_EUlSP_E_NS1_11comp_targetILNS1_3genE2ELNS1_11target_archE906ELNS1_3gpuE6ELNS1_3repE0EEENS1_30default_config_static_selectorELNS0_4arch9wavefront6targetE0EEEvT1_
    .private_segment_fixed_size: 0
    .sgpr_count:     0
    .sgpr_spill_count: 0
    .symbol:         _ZN7rocprim17ROCPRIM_400000_NS6detail17trampoline_kernelINS0_14default_configENS1_20scan_config_selectorIiEEZZNS1_9scan_implILNS1_25lookback_scan_determinismE0ELb0ELb0ES3_N6thrust23THRUST_200600_302600_NS6detail15normal_iteratorINS9_10device_ptrIiEEEESE_iNS9_4plusIvEEiEEDaPvRmT3_T4_T5_mT6_P12ihipStream_tbENKUlT_T0_E_clISt17integral_constantIbLb0EESU_EEDaSP_SQ_EUlSP_E_NS1_11comp_targetILNS1_3genE2ELNS1_11target_archE906ELNS1_3gpuE6ELNS1_3repE0EEENS1_30default_config_static_selectorELNS0_4arch9wavefront6targetE0EEEvT1_.kd
    .uniform_work_group_size: 1
    .uses_dynamic_stack: false
    .vgpr_count:     0
    .vgpr_spill_count: 0
    .wavefront_size: 32
    .workgroup_processor_mode: 1
  - .args:
      - .offset:         0
        .size:           96
        .value_kind:     by_value
    .group_segment_fixed_size: 0
    .kernarg_segment_align: 8
    .kernarg_segment_size: 96
    .language:       OpenCL C
    .language_version:
      - 2
      - 0
    .max_flat_workgroup_size: 256
    .name:           _ZN7rocprim17ROCPRIM_400000_NS6detail17trampoline_kernelINS0_14default_configENS1_20scan_config_selectorIiEEZZNS1_9scan_implILNS1_25lookback_scan_determinismE0ELb0ELb0ES3_N6thrust23THRUST_200600_302600_NS6detail15normal_iteratorINS9_10device_ptrIiEEEESE_iNS9_4plusIvEEiEEDaPvRmT3_T4_T5_mT6_P12ihipStream_tbENKUlT_T0_E_clISt17integral_constantIbLb0EESU_EEDaSP_SQ_EUlSP_E_NS1_11comp_targetILNS1_3genE10ELNS1_11target_archE1201ELNS1_3gpuE5ELNS1_3repE0EEENS1_30default_config_static_selectorELNS0_4arch9wavefront6targetE0EEEvT1_
    .private_segment_fixed_size: 0
    .sgpr_count:     0
    .sgpr_spill_count: 0
    .symbol:         _ZN7rocprim17ROCPRIM_400000_NS6detail17trampoline_kernelINS0_14default_configENS1_20scan_config_selectorIiEEZZNS1_9scan_implILNS1_25lookback_scan_determinismE0ELb0ELb0ES3_N6thrust23THRUST_200600_302600_NS6detail15normal_iteratorINS9_10device_ptrIiEEEESE_iNS9_4plusIvEEiEEDaPvRmT3_T4_T5_mT6_P12ihipStream_tbENKUlT_T0_E_clISt17integral_constantIbLb0EESU_EEDaSP_SQ_EUlSP_E_NS1_11comp_targetILNS1_3genE10ELNS1_11target_archE1201ELNS1_3gpuE5ELNS1_3repE0EEENS1_30default_config_static_selectorELNS0_4arch9wavefront6targetE0EEEvT1_.kd
    .uniform_work_group_size: 1
    .uses_dynamic_stack: false
    .vgpr_count:     0
    .vgpr_spill_count: 0
    .wavefront_size: 32
    .workgroup_processor_mode: 1
  - .args:
      - .offset:         0
        .size:           96
        .value_kind:     by_value
    .group_segment_fixed_size: 0
    .kernarg_segment_align: 8
    .kernarg_segment_size: 96
    .language:       OpenCL C
    .language_version:
      - 2
      - 0
    .max_flat_workgroup_size: 256
    .name:           _ZN7rocprim17ROCPRIM_400000_NS6detail17trampoline_kernelINS0_14default_configENS1_20scan_config_selectorIiEEZZNS1_9scan_implILNS1_25lookback_scan_determinismE0ELb0ELb0ES3_N6thrust23THRUST_200600_302600_NS6detail15normal_iteratorINS9_10device_ptrIiEEEESE_iNS9_4plusIvEEiEEDaPvRmT3_T4_T5_mT6_P12ihipStream_tbENKUlT_T0_E_clISt17integral_constantIbLb0EESU_EEDaSP_SQ_EUlSP_E_NS1_11comp_targetILNS1_3genE10ELNS1_11target_archE1200ELNS1_3gpuE4ELNS1_3repE0EEENS1_30default_config_static_selectorELNS0_4arch9wavefront6targetE0EEEvT1_
    .private_segment_fixed_size: 0
    .sgpr_count:     0
    .sgpr_spill_count: 0
    .symbol:         _ZN7rocprim17ROCPRIM_400000_NS6detail17trampoline_kernelINS0_14default_configENS1_20scan_config_selectorIiEEZZNS1_9scan_implILNS1_25lookback_scan_determinismE0ELb0ELb0ES3_N6thrust23THRUST_200600_302600_NS6detail15normal_iteratorINS9_10device_ptrIiEEEESE_iNS9_4plusIvEEiEEDaPvRmT3_T4_T5_mT6_P12ihipStream_tbENKUlT_T0_E_clISt17integral_constantIbLb0EESU_EEDaSP_SQ_EUlSP_E_NS1_11comp_targetILNS1_3genE10ELNS1_11target_archE1200ELNS1_3gpuE4ELNS1_3repE0EEENS1_30default_config_static_selectorELNS0_4arch9wavefront6targetE0EEEvT1_.kd
    .uniform_work_group_size: 1
    .uses_dynamic_stack: false
    .vgpr_count:     0
    .vgpr_spill_count: 0
    .wavefront_size: 32
    .workgroup_processor_mode: 1
  - .args:
      - .offset:         0
        .size:           96
        .value_kind:     by_value
    .group_segment_fixed_size: 4224
    .kernarg_segment_align: 8
    .kernarg_segment_size: 96
    .language:       OpenCL C
    .language_version:
      - 2
      - 0
    .max_flat_workgroup_size: 256
    .name:           _ZN7rocprim17ROCPRIM_400000_NS6detail17trampoline_kernelINS0_14default_configENS1_20scan_config_selectorIiEEZZNS1_9scan_implILNS1_25lookback_scan_determinismE0ELb0ELb0ES3_N6thrust23THRUST_200600_302600_NS6detail15normal_iteratorINS9_10device_ptrIiEEEESE_iNS9_4plusIvEEiEEDaPvRmT3_T4_T5_mT6_P12ihipStream_tbENKUlT_T0_E_clISt17integral_constantIbLb0EESU_EEDaSP_SQ_EUlSP_E_NS1_11comp_targetILNS1_3genE9ELNS1_11target_archE1100ELNS1_3gpuE3ELNS1_3repE0EEENS1_30default_config_static_selectorELNS0_4arch9wavefront6targetE0EEEvT1_
    .private_segment_fixed_size: 0
    .sgpr_count:     25
    .sgpr_spill_count: 0
    .symbol:         _ZN7rocprim17ROCPRIM_400000_NS6detail17trampoline_kernelINS0_14default_configENS1_20scan_config_selectorIiEEZZNS1_9scan_implILNS1_25lookback_scan_determinismE0ELb0ELb0ES3_N6thrust23THRUST_200600_302600_NS6detail15normal_iteratorINS9_10device_ptrIiEEEESE_iNS9_4plusIvEEiEEDaPvRmT3_T4_T5_mT6_P12ihipStream_tbENKUlT_T0_E_clISt17integral_constantIbLb0EESU_EEDaSP_SQ_EUlSP_E_NS1_11comp_targetILNS1_3genE9ELNS1_11target_archE1100ELNS1_3gpuE3ELNS1_3repE0EEENS1_30default_config_static_selectorELNS0_4arch9wavefront6targetE0EEEvT1_.kd
    .uniform_work_group_size: 1
    .uses_dynamic_stack: false
    .vgpr_count:     32
    .vgpr_spill_count: 0
    .wavefront_size: 32
    .workgroup_processor_mode: 1
  - .args:
      - .offset:         0
        .size:           96
        .value_kind:     by_value
    .group_segment_fixed_size: 0
    .kernarg_segment_align: 8
    .kernarg_segment_size: 96
    .language:       OpenCL C
    .language_version:
      - 2
      - 0
    .max_flat_workgroup_size: 64
    .name:           _ZN7rocprim17ROCPRIM_400000_NS6detail17trampoline_kernelINS0_14default_configENS1_20scan_config_selectorIiEEZZNS1_9scan_implILNS1_25lookback_scan_determinismE0ELb0ELb0ES3_N6thrust23THRUST_200600_302600_NS6detail15normal_iteratorINS9_10device_ptrIiEEEESE_iNS9_4plusIvEEiEEDaPvRmT3_T4_T5_mT6_P12ihipStream_tbENKUlT_T0_E_clISt17integral_constantIbLb0EESU_EEDaSP_SQ_EUlSP_E_NS1_11comp_targetILNS1_3genE8ELNS1_11target_archE1030ELNS1_3gpuE2ELNS1_3repE0EEENS1_30default_config_static_selectorELNS0_4arch9wavefront6targetE0EEEvT1_
    .private_segment_fixed_size: 0
    .sgpr_count:     0
    .sgpr_spill_count: 0
    .symbol:         _ZN7rocprim17ROCPRIM_400000_NS6detail17trampoline_kernelINS0_14default_configENS1_20scan_config_selectorIiEEZZNS1_9scan_implILNS1_25lookback_scan_determinismE0ELb0ELb0ES3_N6thrust23THRUST_200600_302600_NS6detail15normal_iteratorINS9_10device_ptrIiEEEESE_iNS9_4plusIvEEiEEDaPvRmT3_T4_T5_mT6_P12ihipStream_tbENKUlT_T0_E_clISt17integral_constantIbLb0EESU_EEDaSP_SQ_EUlSP_E_NS1_11comp_targetILNS1_3genE8ELNS1_11target_archE1030ELNS1_3gpuE2ELNS1_3repE0EEENS1_30default_config_static_selectorELNS0_4arch9wavefront6targetE0EEEvT1_.kd
    .uniform_work_group_size: 1
    .uses_dynamic_stack: false
    .vgpr_count:     0
    .vgpr_spill_count: 0
    .wavefront_size: 32
    .workgroup_processor_mode: 1
  - .args:
      - .offset:         0
        .size:           40
        .value_kind:     by_value
    .group_segment_fixed_size: 0
    .kernarg_segment_align: 8
    .kernarg_segment_size: 40
    .language:       OpenCL C
    .language_version:
      - 2
      - 0
    .max_flat_workgroup_size: 128
    .name:           _ZN7rocprim17ROCPRIM_400000_NS6detail17trampoline_kernelINS0_14default_configENS1_25transform_config_selectorIiLb1EEEZNS1_14transform_implILb1ES3_S5_PiS7_NS0_8identityIiEEEE10hipError_tT2_T3_mT4_P12ihipStream_tbEUlT_E_NS1_11comp_targetILNS1_3genE0ELNS1_11target_archE4294967295ELNS1_3gpuE0ELNS1_3repE0EEENS1_30default_config_static_selectorELNS0_4arch9wavefront6targetE0EEEvT1_
    .private_segment_fixed_size: 0
    .sgpr_count:     0
    .sgpr_spill_count: 0
    .symbol:         _ZN7rocprim17ROCPRIM_400000_NS6detail17trampoline_kernelINS0_14default_configENS1_25transform_config_selectorIiLb1EEEZNS1_14transform_implILb1ES3_S5_PiS7_NS0_8identityIiEEEE10hipError_tT2_T3_mT4_P12ihipStream_tbEUlT_E_NS1_11comp_targetILNS1_3genE0ELNS1_11target_archE4294967295ELNS1_3gpuE0ELNS1_3repE0EEENS1_30default_config_static_selectorELNS0_4arch9wavefront6targetE0EEEvT1_.kd
    .uniform_work_group_size: 1
    .uses_dynamic_stack: false
    .vgpr_count:     0
    .vgpr_spill_count: 0
    .wavefront_size: 32
    .workgroup_processor_mode: 1
  - .args:
      - .offset:         0
        .size:           40
        .value_kind:     by_value
    .group_segment_fixed_size: 0
    .kernarg_segment_align: 8
    .kernarg_segment_size: 40
    .language:       OpenCL C
    .language_version:
      - 2
      - 0
    .max_flat_workgroup_size: 1024
    .name:           _ZN7rocprim17ROCPRIM_400000_NS6detail17trampoline_kernelINS0_14default_configENS1_25transform_config_selectorIiLb1EEEZNS1_14transform_implILb1ES3_S5_PiS7_NS0_8identityIiEEEE10hipError_tT2_T3_mT4_P12ihipStream_tbEUlT_E_NS1_11comp_targetILNS1_3genE10ELNS1_11target_archE1201ELNS1_3gpuE5ELNS1_3repE0EEENS1_30default_config_static_selectorELNS0_4arch9wavefront6targetE0EEEvT1_
    .private_segment_fixed_size: 0
    .sgpr_count:     0
    .sgpr_spill_count: 0
    .symbol:         _ZN7rocprim17ROCPRIM_400000_NS6detail17trampoline_kernelINS0_14default_configENS1_25transform_config_selectorIiLb1EEEZNS1_14transform_implILb1ES3_S5_PiS7_NS0_8identityIiEEEE10hipError_tT2_T3_mT4_P12ihipStream_tbEUlT_E_NS1_11comp_targetILNS1_3genE10ELNS1_11target_archE1201ELNS1_3gpuE5ELNS1_3repE0EEENS1_30default_config_static_selectorELNS0_4arch9wavefront6targetE0EEEvT1_.kd
    .uniform_work_group_size: 1
    .uses_dynamic_stack: false
    .vgpr_count:     0
    .vgpr_spill_count: 0
    .wavefront_size: 32
    .workgroup_processor_mode: 1
  - .args:
      - .offset:         0
        .size:           40
        .value_kind:     by_value
    .group_segment_fixed_size: 0
    .kernarg_segment_align: 8
    .kernarg_segment_size: 40
    .language:       OpenCL C
    .language_version:
      - 2
      - 0
    .max_flat_workgroup_size: 256
    .name:           _ZN7rocprim17ROCPRIM_400000_NS6detail17trampoline_kernelINS0_14default_configENS1_25transform_config_selectorIiLb1EEEZNS1_14transform_implILb1ES3_S5_PiS7_NS0_8identityIiEEEE10hipError_tT2_T3_mT4_P12ihipStream_tbEUlT_E_NS1_11comp_targetILNS1_3genE5ELNS1_11target_archE942ELNS1_3gpuE9ELNS1_3repE0EEENS1_30default_config_static_selectorELNS0_4arch9wavefront6targetE0EEEvT1_
    .private_segment_fixed_size: 0
    .sgpr_count:     0
    .sgpr_spill_count: 0
    .symbol:         _ZN7rocprim17ROCPRIM_400000_NS6detail17trampoline_kernelINS0_14default_configENS1_25transform_config_selectorIiLb1EEEZNS1_14transform_implILb1ES3_S5_PiS7_NS0_8identityIiEEEE10hipError_tT2_T3_mT4_P12ihipStream_tbEUlT_E_NS1_11comp_targetILNS1_3genE5ELNS1_11target_archE942ELNS1_3gpuE9ELNS1_3repE0EEENS1_30default_config_static_selectorELNS0_4arch9wavefront6targetE0EEEvT1_.kd
    .uniform_work_group_size: 1
    .uses_dynamic_stack: false
    .vgpr_count:     0
    .vgpr_spill_count: 0
    .wavefront_size: 32
    .workgroup_processor_mode: 1
  - .args:
      - .offset:         0
        .size:           40
        .value_kind:     by_value
    .group_segment_fixed_size: 0
    .kernarg_segment_align: 8
    .kernarg_segment_size: 40
    .language:       OpenCL C
    .language_version:
      - 2
      - 0
    .max_flat_workgroup_size: 1024
    .name:           _ZN7rocprim17ROCPRIM_400000_NS6detail17trampoline_kernelINS0_14default_configENS1_25transform_config_selectorIiLb1EEEZNS1_14transform_implILb1ES3_S5_PiS7_NS0_8identityIiEEEE10hipError_tT2_T3_mT4_P12ihipStream_tbEUlT_E_NS1_11comp_targetILNS1_3genE4ELNS1_11target_archE910ELNS1_3gpuE8ELNS1_3repE0EEENS1_30default_config_static_selectorELNS0_4arch9wavefront6targetE0EEEvT1_
    .private_segment_fixed_size: 0
    .sgpr_count:     0
    .sgpr_spill_count: 0
    .symbol:         _ZN7rocprim17ROCPRIM_400000_NS6detail17trampoline_kernelINS0_14default_configENS1_25transform_config_selectorIiLb1EEEZNS1_14transform_implILb1ES3_S5_PiS7_NS0_8identityIiEEEE10hipError_tT2_T3_mT4_P12ihipStream_tbEUlT_E_NS1_11comp_targetILNS1_3genE4ELNS1_11target_archE910ELNS1_3gpuE8ELNS1_3repE0EEENS1_30default_config_static_selectorELNS0_4arch9wavefront6targetE0EEEvT1_.kd
    .uniform_work_group_size: 1
    .uses_dynamic_stack: false
    .vgpr_count:     0
    .vgpr_spill_count: 0
    .wavefront_size: 32
    .workgroup_processor_mode: 1
  - .args:
      - .offset:         0
        .size:           40
        .value_kind:     by_value
    .group_segment_fixed_size: 0
    .kernarg_segment_align: 8
    .kernarg_segment_size: 40
    .language:       OpenCL C
    .language_version:
      - 2
      - 0
    .max_flat_workgroup_size: 128
    .name:           _ZN7rocprim17ROCPRIM_400000_NS6detail17trampoline_kernelINS0_14default_configENS1_25transform_config_selectorIiLb1EEEZNS1_14transform_implILb1ES3_S5_PiS7_NS0_8identityIiEEEE10hipError_tT2_T3_mT4_P12ihipStream_tbEUlT_E_NS1_11comp_targetILNS1_3genE3ELNS1_11target_archE908ELNS1_3gpuE7ELNS1_3repE0EEENS1_30default_config_static_selectorELNS0_4arch9wavefront6targetE0EEEvT1_
    .private_segment_fixed_size: 0
    .sgpr_count:     0
    .sgpr_spill_count: 0
    .symbol:         _ZN7rocprim17ROCPRIM_400000_NS6detail17trampoline_kernelINS0_14default_configENS1_25transform_config_selectorIiLb1EEEZNS1_14transform_implILb1ES3_S5_PiS7_NS0_8identityIiEEEE10hipError_tT2_T3_mT4_P12ihipStream_tbEUlT_E_NS1_11comp_targetILNS1_3genE3ELNS1_11target_archE908ELNS1_3gpuE7ELNS1_3repE0EEENS1_30default_config_static_selectorELNS0_4arch9wavefront6targetE0EEEvT1_.kd
    .uniform_work_group_size: 1
    .uses_dynamic_stack: false
    .vgpr_count:     0
    .vgpr_spill_count: 0
    .wavefront_size: 32
    .workgroup_processor_mode: 1
  - .args:
      - .offset:         0
        .size:           40
        .value_kind:     by_value
    .group_segment_fixed_size: 0
    .kernarg_segment_align: 8
    .kernarg_segment_size: 40
    .language:       OpenCL C
    .language_version:
      - 2
      - 0
    .max_flat_workgroup_size: 1024
    .name:           _ZN7rocprim17ROCPRIM_400000_NS6detail17trampoline_kernelINS0_14default_configENS1_25transform_config_selectorIiLb1EEEZNS1_14transform_implILb1ES3_S5_PiS7_NS0_8identityIiEEEE10hipError_tT2_T3_mT4_P12ihipStream_tbEUlT_E_NS1_11comp_targetILNS1_3genE2ELNS1_11target_archE906ELNS1_3gpuE6ELNS1_3repE0EEENS1_30default_config_static_selectorELNS0_4arch9wavefront6targetE0EEEvT1_
    .private_segment_fixed_size: 0
    .sgpr_count:     0
    .sgpr_spill_count: 0
    .symbol:         _ZN7rocprim17ROCPRIM_400000_NS6detail17trampoline_kernelINS0_14default_configENS1_25transform_config_selectorIiLb1EEEZNS1_14transform_implILb1ES3_S5_PiS7_NS0_8identityIiEEEE10hipError_tT2_T3_mT4_P12ihipStream_tbEUlT_E_NS1_11comp_targetILNS1_3genE2ELNS1_11target_archE906ELNS1_3gpuE6ELNS1_3repE0EEENS1_30default_config_static_selectorELNS0_4arch9wavefront6targetE0EEEvT1_.kd
    .uniform_work_group_size: 1
    .uses_dynamic_stack: false
    .vgpr_count:     0
    .vgpr_spill_count: 0
    .wavefront_size: 32
    .workgroup_processor_mode: 1
  - .args:
      - .offset:         0
        .size:           40
        .value_kind:     by_value
      - .offset:         40
        .size:           4
        .value_kind:     hidden_block_count_x
      - .offset:         44
        .size:           4
        .value_kind:     hidden_block_count_y
      - .offset:         48
        .size:           4
        .value_kind:     hidden_block_count_z
      - .offset:         52
        .size:           2
        .value_kind:     hidden_group_size_x
      - .offset:         54
        .size:           2
        .value_kind:     hidden_group_size_y
      - .offset:         56
        .size:           2
        .value_kind:     hidden_group_size_z
      - .offset:         58
        .size:           2
        .value_kind:     hidden_remainder_x
      - .offset:         60
        .size:           2
        .value_kind:     hidden_remainder_y
      - .offset:         62
        .size:           2
        .value_kind:     hidden_remainder_z
      - .offset:         80
        .size:           8
        .value_kind:     hidden_global_offset_x
      - .offset:         88
        .size:           8
        .value_kind:     hidden_global_offset_y
      - .offset:         96
        .size:           8
        .value_kind:     hidden_global_offset_z
      - .offset:         104
        .size:           2
        .value_kind:     hidden_grid_dims
    .group_segment_fixed_size: 0
    .kernarg_segment_align: 8
    .kernarg_segment_size: 296
    .language:       OpenCL C
    .language_version:
      - 2
      - 0
    .max_flat_workgroup_size: 1024
    .name:           _ZN7rocprim17ROCPRIM_400000_NS6detail17trampoline_kernelINS0_14default_configENS1_25transform_config_selectorIiLb1EEEZNS1_14transform_implILb1ES3_S5_PiS7_NS0_8identityIiEEEE10hipError_tT2_T3_mT4_P12ihipStream_tbEUlT_E_NS1_11comp_targetILNS1_3genE9ELNS1_11target_archE1100ELNS1_3gpuE3ELNS1_3repE0EEENS1_30default_config_static_selectorELNS0_4arch9wavefront6targetE0EEEvT1_
    .private_segment_fixed_size: 0
    .sgpr_count:     18
    .sgpr_spill_count: 0
    .symbol:         _ZN7rocprim17ROCPRIM_400000_NS6detail17trampoline_kernelINS0_14default_configENS1_25transform_config_selectorIiLb1EEEZNS1_14transform_implILb1ES3_S5_PiS7_NS0_8identityIiEEEE10hipError_tT2_T3_mT4_P12ihipStream_tbEUlT_E_NS1_11comp_targetILNS1_3genE9ELNS1_11target_archE1100ELNS1_3gpuE3ELNS1_3repE0EEENS1_30default_config_static_selectorELNS0_4arch9wavefront6targetE0EEEvT1_.kd
    .uniform_work_group_size: 1
    .uses_dynamic_stack: false
    .vgpr_count:     5
    .vgpr_spill_count: 0
    .wavefront_size: 32
    .workgroup_processor_mode: 1
  - .args:
      - .offset:         0
        .size:           40
        .value_kind:     by_value
    .group_segment_fixed_size: 0
    .kernarg_segment_align: 8
    .kernarg_segment_size: 40
    .language:       OpenCL C
    .language_version:
      - 2
      - 0
    .max_flat_workgroup_size: 1024
    .name:           _ZN7rocprim17ROCPRIM_400000_NS6detail17trampoline_kernelINS0_14default_configENS1_25transform_config_selectorIiLb1EEEZNS1_14transform_implILb1ES3_S5_PiS7_NS0_8identityIiEEEE10hipError_tT2_T3_mT4_P12ihipStream_tbEUlT_E_NS1_11comp_targetILNS1_3genE8ELNS1_11target_archE1030ELNS1_3gpuE2ELNS1_3repE0EEENS1_30default_config_static_selectorELNS0_4arch9wavefront6targetE0EEEvT1_
    .private_segment_fixed_size: 0
    .sgpr_count:     0
    .sgpr_spill_count: 0
    .symbol:         _ZN7rocprim17ROCPRIM_400000_NS6detail17trampoline_kernelINS0_14default_configENS1_25transform_config_selectorIiLb1EEEZNS1_14transform_implILb1ES3_S5_PiS7_NS0_8identityIiEEEE10hipError_tT2_T3_mT4_P12ihipStream_tbEUlT_E_NS1_11comp_targetILNS1_3genE8ELNS1_11target_archE1030ELNS1_3gpuE2ELNS1_3repE0EEENS1_30default_config_static_selectorELNS0_4arch9wavefront6targetE0EEEvT1_.kd
    .uniform_work_group_size: 1
    .uses_dynamic_stack: false
    .vgpr_count:     0
    .vgpr_spill_count: 0
    .wavefront_size: 32
    .workgroup_processor_mode: 1
  - .args:
      - .offset:         0
        .size:           32
        .value_kind:     by_value
    .group_segment_fixed_size: 0
    .kernarg_segment_align: 8
    .kernarg_segment_size: 32
    .language:       OpenCL C
    .language_version:
      - 2
      - 0
    .max_flat_workgroup_size: 256
    .name:           _ZN7rocprim17ROCPRIM_400000_NS6detail17trampoline_kernelINS0_14default_configENS1_20scan_config_selectorIiEEZZNS1_9scan_implILNS1_25lookback_scan_determinismE0ELb0ELb0ES3_N6thrust23THRUST_200600_302600_NS6detail15normal_iteratorINS9_10device_ptrIiEEEESE_iNS9_4plusIvEEiEEDaPvRmT3_T4_T5_mT6_P12ihipStream_tbENKUlT_T0_E_clISt17integral_constantIbLb0EESU_EEDaSP_SQ_EUlSP_E0_NS1_11comp_targetILNS1_3genE0ELNS1_11target_archE4294967295ELNS1_3gpuE0ELNS1_3repE0EEENS1_30default_config_static_selectorELNS0_4arch9wavefront6targetE0EEEvT1_
    .private_segment_fixed_size: 0
    .sgpr_count:     0
    .sgpr_spill_count: 0
    .symbol:         _ZN7rocprim17ROCPRIM_400000_NS6detail17trampoline_kernelINS0_14default_configENS1_20scan_config_selectorIiEEZZNS1_9scan_implILNS1_25lookback_scan_determinismE0ELb0ELb0ES3_N6thrust23THRUST_200600_302600_NS6detail15normal_iteratorINS9_10device_ptrIiEEEESE_iNS9_4plusIvEEiEEDaPvRmT3_T4_T5_mT6_P12ihipStream_tbENKUlT_T0_E_clISt17integral_constantIbLb0EESU_EEDaSP_SQ_EUlSP_E0_NS1_11comp_targetILNS1_3genE0ELNS1_11target_archE4294967295ELNS1_3gpuE0ELNS1_3repE0EEENS1_30default_config_static_selectorELNS0_4arch9wavefront6targetE0EEEvT1_.kd
    .uniform_work_group_size: 1
    .uses_dynamic_stack: false
    .vgpr_count:     0
    .vgpr_spill_count: 0
    .wavefront_size: 32
    .workgroup_processor_mode: 1
  - .args:
      - .offset:         0
        .size:           32
        .value_kind:     by_value
    .group_segment_fixed_size: 0
    .kernarg_segment_align: 8
    .kernarg_segment_size: 32
    .language:       OpenCL C
    .language_version:
      - 2
      - 0
    .max_flat_workgroup_size: 256
    .name:           _ZN7rocprim17ROCPRIM_400000_NS6detail17trampoline_kernelINS0_14default_configENS1_20scan_config_selectorIiEEZZNS1_9scan_implILNS1_25lookback_scan_determinismE0ELb0ELb0ES3_N6thrust23THRUST_200600_302600_NS6detail15normal_iteratorINS9_10device_ptrIiEEEESE_iNS9_4plusIvEEiEEDaPvRmT3_T4_T5_mT6_P12ihipStream_tbENKUlT_T0_E_clISt17integral_constantIbLb0EESU_EEDaSP_SQ_EUlSP_E0_NS1_11comp_targetILNS1_3genE5ELNS1_11target_archE942ELNS1_3gpuE9ELNS1_3repE0EEENS1_30default_config_static_selectorELNS0_4arch9wavefront6targetE0EEEvT1_
    .private_segment_fixed_size: 0
    .sgpr_count:     0
    .sgpr_spill_count: 0
    .symbol:         _ZN7rocprim17ROCPRIM_400000_NS6detail17trampoline_kernelINS0_14default_configENS1_20scan_config_selectorIiEEZZNS1_9scan_implILNS1_25lookback_scan_determinismE0ELb0ELb0ES3_N6thrust23THRUST_200600_302600_NS6detail15normal_iteratorINS9_10device_ptrIiEEEESE_iNS9_4plusIvEEiEEDaPvRmT3_T4_T5_mT6_P12ihipStream_tbENKUlT_T0_E_clISt17integral_constantIbLb0EESU_EEDaSP_SQ_EUlSP_E0_NS1_11comp_targetILNS1_3genE5ELNS1_11target_archE942ELNS1_3gpuE9ELNS1_3repE0EEENS1_30default_config_static_selectorELNS0_4arch9wavefront6targetE0EEEvT1_.kd
    .uniform_work_group_size: 1
    .uses_dynamic_stack: false
    .vgpr_count:     0
    .vgpr_spill_count: 0
    .wavefront_size: 32
    .workgroup_processor_mode: 1
  - .args:
      - .offset:         0
        .size:           32
        .value_kind:     by_value
    .group_segment_fixed_size: 0
    .kernarg_segment_align: 8
    .kernarg_segment_size: 32
    .language:       OpenCL C
    .language_version:
      - 2
      - 0
    .max_flat_workgroup_size: 128
    .name:           _ZN7rocprim17ROCPRIM_400000_NS6detail17trampoline_kernelINS0_14default_configENS1_20scan_config_selectorIiEEZZNS1_9scan_implILNS1_25lookback_scan_determinismE0ELb0ELb0ES3_N6thrust23THRUST_200600_302600_NS6detail15normal_iteratorINS9_10device_ptrIiEEEESE_iNS9_4plusIvEEiEEDaPvRmT3_T4_T5_mT6_P12ihipStream_tbENKUlT_T0_E_clISt17integral_constantIbLb0EESU_EEDaSP_SQ_EUlSP_E0_NS1_11comp_targetILNS1_3genE4ELNS1_11target_archE910ELNS1_3gpuE8ELNS1_3repE0EEENS1_30default_config_static_selectorELNS0_4arch9wavefront6targetE0EEEvT1_
    .private_segment_fixed_size: 0
    .sgpr_count:     0
    .sgpr_spill_count: 0
    .symbol:         _ZN7rocprim17ROCPRIM_400000_NS6detail17trampoline_kernelINS0_14default_configENS1_20scan_config_selectorIiEEZZNS1_9scan_implILNS1_25lookback_scan_determinismE0ELb0ELb0ES3_N6thrust23THRUST_200600_302600_NS6detail15normal_iteratorINS9_10device_ptrIiEEEESE_iNS9_4plusIvEEiEEDaPvRmT3_T4_T5_mT6_P12ihipStream_tbENKUlT_T0_E_clISt17integral_constantIbLb0EESU_EEDaSP_SQ_EUlSP_E0_NS1_11comp_targetILNS1_3genE4ELNS1_11target_archE910ELNS1_3gpuE8ELNS1_3repE0EEENS1_30default_config_static_selectorELNS0_4arch9wavefront6targetE0EEEvT1_.kd
    .uniform_work_group_size: 1
    .uses_dynamic_stack: false
    .vgpr_count:     0
    .vgpr_spill_count: 0
    .wavefront_size: 32
    .workgroup_processor_mode: 1
  - .args:
      - .offset:         0
        .size:           32
        .value_kind:     by_value
    .group_segment_fixed_size: 0
    .kernarg_segment_align: 8
    .kernarg_segment_size: 32
    .language:       OpenCL C
    .language_version:
      - 2
      - 0
    .max_flat_workgroup_size: 256
    .name:           _ZN7rocprim17ROCPRIM_400000_NS6detail17trampoline_kernelINS0_14default_configENS1_20scan_config_selectorIiEEZZNS1_9scan_implILNS1_25lookback_scan_determinismE0ELb0ELb0ES3_N6thrust23THRUST_200600_302600_NS6detail15normal_iteratorINS9_10device_ptrIiEEEESE_iNS9_4plusIvEEiEEDaPvRmT3_T4_T5_mT6_P12ihipStream_tbENKUlT_T0_E_clISt17integral_constantIbLb0EESU_EEDaSP_SQ_EUlSP_E0_NS1_11comp_targetILNS1_3genE3ELNS1_11target_archE908ELNS1_3gpuE7ELNS1_3repE0EEENS1_30default_config_static_selectorELNS0_4arch9wavefront6targetE0EEEvT1_
    .private_segment_fixed_size: 0
    .sgpr_count:     0
    .sgpr_spill_count: 0
    .symbol:         _ZN7rocprim17ROCPRIM_400000_NS6detail17trampoline_kernelINS0_14default_configENS1_20scan_config_selectorIiEEZZNS1_9scan_implILNS1_25lookback_scan_determinismE0ELb0ELb0ES3_N6thrust23THRUST_200600_302600_NS6detail15normal_iteratorINS9_10device_ptrIiEEEESE_iNS9_4plusIvEEiEEDaPvRmT3_T4_T5_mT6_P12ihipStream_tbENKUlT_T0_E_clISt17integral_constantIbLb0EESU_EEDaSP_SQ_EUlSP_E0_NS1_11comp_targetILNS1_3genE3ELNS1_11target_archE908ELNS1_3gpuE7ELNS1_3repE0EEENS1_30default_config_static_selectorELNS0_4arch9wavefront6targetE0EEEvT1_.kd
    .uniform_work_group_size: 1
    .uses_dynamic_stack: false
    .vgpr_count:     0
    .vgpr_spill_count: 0
    .wavefront_size: 32
    .workgroup_processor_mode: 1
  - .args:
      - .offset:         0
        .size:           32
        .value_kind:     by_value
    .group_segment_fixed_size: 0
    .kernarg_segment_align: 8
    .kernarg_segment_size: 32
    .language:       OpenCL C
    .language_version:
      - 2
      - 0
    .max_flat_workgroup_size: 256
    .name:           _ZN7rocprim17ROCPRIM_400000_NS6detail17trampoline_kernelINS0_14default_configENS1_20scan_config_selectorIiEEZZNS1_9scan_implILNS1_25lookback_scan_determinismE0ELb0ELb0ES3_N6thrust23THRUST_200600_302600_NS6detail15normal_iteratorINS9_10device_ptrIiEEEESE_iNS9_4plusIvEEiEEDaPvRmT3_T4_T5_mT6_P12ihipStream_tbENKUlT_T0_E_clISt17integral_constantIbLb0EESU_EEDaSP_SQ_EUlSP_E0_NS1_11comp_targetILNS1_3genE2ELNS1_11target_archE906ELNS1_3gpuE6ELNS1_3repE0EEENS1_30default_config_static_selectorELNS0_4arch9wavefront6targetE0EEEvT1_
    .private_segment_fixed_size: 0
    .sgpr_count:     0
    .sgpr_spill_count: 0
    .symbol:         _ZN7rocprim17ROCPRIM_400000_NS6detail17trampoline_kernelINS0_14default_configENS1_20scan_config_selectorIiEEZZNS1_9scan_implILNS1_25lookback_scan_determinismE0ELb0ELb0ES3_N6thrust23THRUST_200600_302600_NS6detail15normal_iteratorINS9_10device_ptrIiEEEESE_iNS9_4plusIvEEiEEDaPvRmT3_T4_T5_mT6_P12ihipStream_tbENKUlT_T0_E_clISt17integral_constantIbLb0EESU_EEDaSP_SQ_EUlSP_E0_NS1_11comp_targetILNS1_3genE2ELNS1_11target_archE906ELNS1_3gpuE6ELNS1_3repE0EEENS1_30default_config_static_selectorELNS0_4arch9wavefront6targetE0EEEvT1_.kd
    .uniform_work_group_size: 1
    .uses_dynamic_stack: false
    .vgpr_count:     0
    .vgpr_spill_count: 0
    .wavefront_size: 32
    .workgroup_processor_mode: 1
  - .args:
      - .offset:         0
        .size:           32
        .value_kind:     by_value
    .group_segment_fixed_size: 0
    .kernarg_segment_align: 8
    .kernarg_segment_size: 32
    .language:       OpenCL C
    .language_version:
      - 2
      - 0
    .max_flat_workgroup_size: 256
    .name:           _ZN7rocprim17ROCPRIM_400000_NS6detail17trampoline_kernelINS0_14default_configENS1_20scan_config_selectorIiEEZZNS1_9scan_implILNS1_25lookback_scan_determinismE0ELb0ELb0ES3_N6thrust23THRUST_200600_302600_NS6detail15normal_iteratorINS9_10device_ptrIiEEEESE_iNS9_4plusIvEEiEEDaPvRmT3_T4_T5_mT6_P12ihipStream_tbENKUlT_T0_E_clISt17integral_constantIbLb0EESU_EEDaSP_SQ_EUlSP_E0_NS1_11comp_targetILNS1_3genE10ELNS1_11target_archE1201ELNS1_3gpuE5ELNS1_3repE0EEENS1_30default_config_static_selectorELNS0_4arch9wavefront6targetE0EEEvT1_
    .private_segment_fixed_size: 0
    .sgpr_count:     0
    .sgpr_spill_count: 0
    .symbol:         _ZN7rocprim17ROCPRIM_400000_NS6detail17trampoline_kernelINS0_14default_configENS1_20scan_config_selectorIiEEZZNS1_9scan_implILNS1_25lookback_scan_determinismE0ELb0ELb0ES3_N6thrust23THRUST_200600_302600_NS6detail15normal_iteratorINS9_10device_ptrIiEEEESE_iNS9_4plusIvEEiEEDaPvRmT3_T4_T5_mT6_P12ihipStream_tbENKUlT_T0_E_clISt17integral_constantIbLb0EESU_EEDaSP_SQ_EUlSP_E0_NS1_11comp_targetILNS1_3genE10ELNS1_11target_archE1201ELNS1_3gpuE5ELNS1_3repE0EEENS1_30default_config_static_selectorELNS0_4arch9wavefront6targetE0EEEvT1_.kd
    .uniform_work_group_size: 1
    .uses_dynamic_stack: false
    .vgpr_count:     0
    .vgpr_spill_count: 0
    .wavefront_size: 32
    .workgroup_processor_mode: 1
  - .args:
      - .offset:         0
        .size:           32
        .value_kind:     by_value
    .group_segment_fixed_size: 0
    .kernarg_segment_align: 8
    .kernarg_segment_size: 32
    .language:       OpenCL C
    .language_version:
      - 2
      - 0
    .max_flat_workgroup_size: 256
    .name:           _ZN7rocprim17ROCPRIM_400000_NS6detail17trampoline_kernelINS0_14default_configENS1_20scan_config_selectorIiEEZZNS1_9scan_implILNS1_25lookback_scan_determinismE0ELb0ELb0ES3_N6thrust23THRUST_200600_302600_NS6detail15normal_iteratorINS9_10device_ptrIiEEEESE_iNS9_4plusIvEEiEEDaPvRmT3_T4_T5_mT6_P12ihipStream_tbENKUlT_T0_E_clISt17integral_constantIbLb0EESU_EEDaSP_SQ_EUlSP_E0_NS1_11comp_targetILNS1_3genE10ELNS1_11target_archE1200ELNS1_3gpuE4ELNS1_3repE0EEENS1_30default_config_static_selectorELNS0_4arch9wavefront6targetE0EEEvT1_
    .private_segment_fixed_size: 0
    .sgpr_count:     0
    .sgpr_spill_count: 0
    .symbol:         _ZN7rocprim17ROCPRIM_400000_NS6detail17trampoline_kernelINS0_14default_configENS1_20scan_config_selectorIiEEZZNS1_9scan_implILNS1_25lookback_scan_determinismE0ELb0ELb0ES3_N6thrust23THRUST_200600_302600_NS6detail15normal_iteratorINS9_10device_ptrIiEEEESE_iNS9_4plusIvEEiEEDaPvRmT3_T4_T5_mT6_P12ihipStream_tbENKUlT_T0_E_clISt17integral_constantIbLb0EESU_EEDaSP_SQ_EUlSP_E0_NS1_11comp_targetILNS1_3genE10ELNS1_11target_archE1200ELNS1_3gpuE4ELNS1_3repE0EEENS1_30default_config_static_selectorELNS0_4arch9wavefront6targetE0EEEvT1_.kd
    .uniform_work_group_size: 1
    .uses_dynamic_stack: false
    .vgpr_count:     0
    .vgpr_spill_count: 0
    .wavefront_size: 32
    .workgroup_processor_mode: 1
  - .args:
      - .offset:         0
        .size:           32
        .value_kind:     by_value
    .group_segment_fixed_size: 4224
    .kernarg_segment_align: 8
    .kernarg_segment_size: 32
    .language:       OpenCL C
    .language_version:
      - 2
      - 0
    .max_flat_workgroup_size: 256
    .name:           _ZN7rocprim17ROCPRIM_400000_NS6detail17trampoline_kernelINS0_14default_configENS1_20scan_config_selectorIiEEZZNS1_9scan_implILNS1_25lookback_scan_determinismE0ELb0ELb0ES3_N6thrust23THRUST_200600_302600_NS6detail15normal_iteratorINS9_10device_ptrIiEEEESE_iNS9_4plusIvEEiEEDaPvRmT3_T4_T5_mT6_P12ihipStream_tbENKUlT_T0_E_clISt17integral_constantIbLb0EESU_EEDaSP_SQ_EUlSP_E0_NS1_11comp_targetILNS1_3genE9ELNS1_11target_archE1100ELNS1_3gpuE3ELNS1_3repE0EEENS1_30default_config_static_selectorELNS0_4arch9wavefront6targetE0EEEvT1_
    .private_segment_fixed_size: 0
    .sgpr_count:     14
    .sgpr_spill_count: 0
    .symbol:         _ZN7rocprim17ROCPRIM_400000_NS6detail17trampoline_kernelINS0_14default_configENS1_20scan_config_selectorIiEEZZNS1_9scan_implILNS1_25lookback_scan_determinismE0ELb0ELb0ES3_N6thrust23THRUST_200600_302600_NS6detail15normal_iteratorINS9_10device_ptrIiEEEESE_iNS9_4plusIvEEiEEDaPvRmT3_T4_T5_mT6_P12ihipStream_tbENKUlT_T0_E_clISt17integral_constantIbLb0EESU_EEDaSP_SQ_EUlSP_E0_NS1_11comp_targetILNS1_3genE9ELNS1_11target_archE1100ELNS1_3gpuE3ELNS1_3repE0EEENS1_30default_config_static_selectorELNS0_4arch9wavefront6targetE0EEEvT1_.kd
    .uniform_work_group_size: 1
    .uses_dynamic_stack: false
    .vgpr_count:     23
    .vgpr_spill_count: 0
    .wavefront_size: 32
    .workgroup_processor_mode: 1
  - .args:
      - .offset:         0
        .size:           32
        .value_kind:     by_value
    .group_segment_fixed_size: 0
    .kernarg_segment_align: 8
    .kernarg_segment_size: 32
    .language:       OpenCL C
    .language_version:
      - 2
      - 0
    .max_flat_workgroup_size: 64
    .name:           _ZN7rocprim17ROCPRIM_400000_NS6detail17trampoline_kernelINS0_14default_configENS1_20scan_config_selectorIiEEZZNS1_9scan_implILNS1_25lookback_scan_determinismE0ELb0ELb0ES3_N6thrust23THRUST_200600_302600_NS6detail15normal_iteratorINS9_10device_ptrIiEEEESE_iNS9_4plusIvEEiEEDaPvRmT3_T4_T5_mT6_P12ihipStream_tbENKUlT_T0_E_clISt17integral_constantIbLb0EESU_EEDaSP_SQ_EUlSP_E0_NS1_11comp_targetILNS1_3genE8ELNS1_11target_archE1030ELNS1_3gpuE2ELNS1_3repE0EEENS1_30default_config_static_selectorELNS0_4arch9wavefront6targetE0EEEvT1_
    .private_segment_fixed_size: 0
    .sgpr_count:     0
    .sgpr_spill_count: 0
    .symbol:         _ZN7rocprim17ROCPRIM_400000_NS6detail17trampoline_kernelINS0_14default_configENS1_20scan_config_selectorIiEEZZNS1_9scan_implILNS1_25lookback_scan_determinismE0ELb0ELb0ES3_N6thrust23THRUST_200600_302600_NS6detail15normal_iteratorINS9_10device_ptrIiEEEESE_iNS9_4plusIvEEiEEDaPvRmT3_T4_T5_mT6_P12ihipStream_tbENKUlT_T0_E_clISt17integral_constantIbLb0EESU_EEDaSP_SQ_EUlSP_E0_NS1_11comp_targetILNS1_3genE8ELNS1_11target_archE1030ELNS1_3gpuE2ELNS1_3repE0EEENS1_30default_config_static_selectorELNS0_4arch9wavefront6targetE0EEEvT1_.kd
    .uniform_work_group_size: 1
    .uses_dynamic_stack: false
    .vgpr_count:     0
    .vgpr_spill_count: 0
    .wavefront_size: 32
    .workgroup_processor_mode: 1
  - .args:
      - .address_space:  global
        .offset:         0
        .size:           8
        .value_kind:     global_buffer
      - .offset:         8
        .size:           4
        .value_kind:     by_value
      - .address_space:  global
        .offset:         16
        .size:           8
        .value_kind:     global_buffer
      - .offset:         24
        .size:           4
        .value_kind:     by_value
      - .address_space:  global
        .offset:         32
        .size:           8
        .value_kind:     global_buffer
      - .offset:         40
        .size:           4
        .value_kind:     hidden_block_count_x
      - .offset:         44
        .size:           4
        .value_kind:     hidden_block_count_y
      - .offset:         48
        .size:           4
        .value_kind:     hidden_block_count_z
      - .offset:         52
        .size:           2
        .value_kind:     hidden_group_size_x
      - .offset:         54
        .size:           2
        .value_kind:     hidden_group_size_y
      - .offset:         56
        .size:           2
        .value_kind:     hidden_group_size_z
      - .offset:         58
        .size:           2
        .value_kind:     hidden_remainder_x
      - .offset:         60
        .size:           2
        .value_kind:     hidden_remainder_y
      - .offset:         62
        .size:           2
        .value_kind:     hidden_remainder_z
      - .offset:         80
        .size:           8
        .value_kind:     hidden_global_offset_x
      - .offset:         88
        .size:           8
        .value_kind:     hidden_global_offset_y
      - .offset:         96
        .size:           8
        .value_kind:     hidden_global_offset_z
      - .offset:         104
        .size:           2
        .value_kind:     hidden_grid_dims
    .group_segment_fixed_size: 0
    .kernarg_segment_align: 8
    .kernarg_segment_size: 296
    .language:       OpenCL C
    .language_version:
      - 2
      - 0
    .max_flat_workgroup_size: 256
    .name:           _ZN7rocprim17ROCPRIM_400000_NS6detail31init_lookback_scan_state_kernelINS1_19lookback_scan_stateIiLb1ELb1EEENS1_16block_id_wrapperIjLb1EEEEEvT_jT0_jPNS7_10value_typeE
    .private_segment_fixed_size: 0
    .sgpr_count:     18
    .sgpr_spill_count: 0
    .symbol:         _ZN7rocprim17ROCPRIM_400000_NS6detail31init_lookback_scan_state_kernelINS1_19lookback_scan_stateIiLb1ELb1EEENS1_16block_id_wrapperIjLb1EEEEEvT_jT0_jPNS7_10value_typeE.kd
    .uniform_work_group_size: 1
    .uses_dynamic_stack: false
    .vgpr_count:     6
    .vgpr_spill_count: 0
    .wavefront_size: 32
    .workgroup_processor_mode: 1
  - .args:
      - .offset:         0
        .size:           96
        .value_kind:     by_value
    .group_segment_fixed_size: 0
    .kernarg_segment_align: 8
    .kernarg_segment_size: 96
    .language:       OpenCL C
    .language_version:
      - 2
      - 0
    .max_flat_workgroup_size: 256
    .name:           _ZN7rocprim17ROCPRIM_400000_NS6detail17trampoline_kernelINS0_14default_configENS1_20scan_config_selectorIiEEZZNS1_9scan_implILNS1_25lookback_scan_determinismE0ELb0ELb0ES3_N6thrust23THRUST_200600_302600_NS6detail15normal_iteratorINS9_10device_ptrIiEEEESE_iNS9_4plusIvEEiEEDaPvRmT3_T4_T5_mT6_P12ihipStream_tbENKUlT_T0_E_clISt17integral_constantIbLb1EESU_EEDaSP_SQ_EUlSP_E_NS1_11comp_targetILNS1_3genE0ELNS1_11target_archE4294967295ELNS1_3gpuE0ELNS1_3repE0EEENS1_30default_config_static_selectorELNS0_4arch9wavefront6targetE0EEEvT1_
    .private_segment_fixed_size: 0
    .sgpr_count:     0
    .sgpr_spill_count: 0
    .symbol:         _ZN7rocprim17ROCPRIM_400000_NS6detail17trampoline_kernelINS0_14default_configENS1_20scan_config_selectorIiEEZZNS1_9scan_implILNS1_25lookback_scan_determinismE0ELb0ELb0ES3_N6thrust23THRUST_200600_302600_NS6detail15normal_iteratorINS9_10device_ptrIiEEEESE_iNS9_4plusIvEEiEEDaPvRmT3_T4_T5_mT6_P12ihipStream_tbENKUlT_T0_E_clISt17integral_constantIbLb1EESU_EEDaSP_SQ_EUlSP_E_NS1_11comp_targetILNS1_3genE0ELNS1_11target_archE4294967295ELNS1_3gpuE0ELNS1_3repE0EEENS1_30default_config_static_selectorELNS0_4arch9wavefront6targetE0EEEvT1_.kd
    .uniform_work_group_size: 1
    .uses_dynamic_stack: false
    .vgpr_count:     0
    .vgpr_spill_count: 0
    .wavefront_size: 32
    .workgroup_processor_mode: 1
  - .args:
      - .offset:         0
        .size:           96
        .value_kind:     by_value
    .group_segment_fixed_size: 0
    .kernarg_segment_align: 8
    .kernarg_segment_size: 96
    .language:       OpenCL C
    .language_version:
      - 2
      - 0
    .max_flat_workgroup_size: 256
    .name:           _ZN7rocprim17ROCPRIM_400000_NS6detail17trampoline_kernelINS0_14default_configENS1_20scan_config_selectorIiEEZZNS1_9scan_implILNS1_25lookback_scan_determinismE0ELb0ELb0ES3_N6thrust23THRUST_200600_302600_NS6detail15normal_iteratorINS9_10device_ptrIiEEEESE_iNS9_4plusIvEEiEEDaPvRmT3_T4_T5_mT6_P12ihipStream_tbENKUlT_T0_E_clISt17integral_constantIbLb1EESU_EEDaSP_SQ_EUlSP_E_NS1_11comp_targetILNS1_3genE5ELNS1_11target_archE942ELNS1_3gpuE9ELNS1_3repE0EEENS1_30default_config_static_selectorELNS0_4arch9wavefront6targetE0EEEvT1_
    .private_segment_fixed_size: 0
    .sgpr_count:     0
    .sgpr_spill_count: 0
    .symbol:         _ZN7rocprim17ROCPRIM_400000_NS6detail17trampoline_kernelINS0_14default_configENS1_20scan_config_selectorIiEEZZNS1_9scan_implILNS1_25lookback_scan_determinismE0ELb0ELb0ES3_N6thrust23THRUST_200600_302600_NS6detail15normal_iteratorINS9_10device_ptrIiEEEESE_iNS9_4plusIvEEiEEDaPvRmT3_T4_T5_mT6_P12ihipStream_tbENKUlT_T0_E_clISt17integral_constantIbLb1EESU_EEDaSP_SQ_EUlSP_E_NS1_11comp_targetILNS1_3genE5ELNS1_11target_archE942ELNS1_3gpuE9ELNS1_3repE0EEENS1_30default_config_static_selectorELNS0_4arch9wavefront6targetE0EEEvT1_.kd
    .uniform_work_group_size: 1
    .uses_dynamic_stack: false
    .vgpr_count:     0
    .vgpr_spill_count: 0
    .wavefront_size: 32
    .workgroup_processor_mode: 1
  - .args:
      - .offset:         0
        .size:           96
        .value_kind:     by_value
    .group_segment_fixed_size: 0
    .kernarg_segment_align: 8
    .kernarg_segment_size: 96
    .language:       OpenCL C
    .language_version:
      - 2
      - 0
    .max_flat_workgroup_size: 128
    .name:           _ZN7rocprim17ROCPRIM_400000_NS6detail17trampoline_kernelINS0_14default_configENS1_20scan_config_selectorIiEEZZNS1_9scan_implILNS1_25lookback_scan_determinismE0ELb0ELb0ES3_N6thrust23THRUST_200600_302600_NS6detail15normal_iteratorINS9_10device_ptrIiEEEESE_iNS9_4plusIvEEiEEDaPvRmT3_T4_T5_mT6_P12ihipStream_tbENKUlT_T0_E_clISt17integral_constantIbLb1EESU_EEDaSP_SQ_EUlSP_E_NS1_11comp_targetILNS1_3genE4ELNS1_11target_archE910ELNS1_3gpuE8ELNS1_3repE0EEENS1_30default_config_static_selectorELNS0_4arch9wavefront6targetE0EEEvT1_
    .private_segment_fixed_size: 0
    .sgpr_count:     0
    .sgpr_spill_count: 0
    .symbol:         _ZN7rocprim17ROCPRIM_400000_NS6detail17trampoline_kernelINS0_14default_configENS1_20scan_config_selectorIiEEZZNS1_9scan_implILNS1_25lookback_scan_determinismE0ELb0ELb0ES3_N6thrust23THRUST_200600_302600_NS6detail15normal_iteratorINS9_10device_ptrIiEEEESE_iNS9_4plusIvEEiEEDaPvRmT3_T4_T5_mT6_P12ihipStream_tbENKUlT_T0_E_clISt17integral_constantIbLb1EESU_EEDaSP_SQ_EUlSP_E_NS1_11comp_targetILNS1_3genE4ELNS1_11target_archE910ELNS1_3gpuE8ELNS1_3repE0EEENS1_30default_config_static_selectorELNS0_4arch9wavefront6targetE0EEEvT1_.kd
    .uniform_work_group_size: 1
    .uses_dynamic_stack: false
    .vgpr_count:     0
    .vgpr_spill_count: 0
    .wavefront_size: 32
    .workgroup_processor_mode: 1
  - .args:
      - .offset:         0
        .size:           96
        .value_kind:     by_value
    .group_segment_fixed_size: 0
    .kernarg_segment_align: 8
    .kernarg_segment_size: 96
    .language:       OpenCL C
    .language_version:
      - 2
      - 0
    .max_flat_workgroup_size: 256
    .name:           _ZN7rocprim17ROCPRIM_400000_NS6detail17trampoline_kernelINS0_14default_configENS1_20scan_config_selectorIiEEZZNS1_9scan_implILNS1_25lookback_scan_determinismE0ELb0ELb0ES3_N6thrust23THRUST_200600_302600_NS6detail15normal_iteratorINS9_10device_ptrIiEEEESE_iNS9_4plusIvEEiEEDaPvRmT3_T4_T5_mT6_P12ihipStream_tbENKUlT_T0_E_clISt17integral_constantIbLb1EESU_EEDaSP_SQ_EUlSP_E_NS1_11comp_targetILNS1_3genE3ELNS1_11target_archE908ELNS1_3gpuE7ELNS1_3repE0EEENS1_30default_config_static_selectorELNS0_4arch9wavefront6targetE0EEEvT1_
    .private_segment_fixed_size: 0
    .sgpr_count:     0
    .sgpr_spill_count: 0
    .symbol:         _ZN7rocprim17ROCPRIM_400000_NS6detail17trampoline_kernelINS0_14default_configENS1_20scan_config_selectorIiEEZZNS1_9scan_implILNS1_25lookback_scan_determinismE0ELb0ELb0ES3_N6thrust23THRUST_200600_302600_NS6detail15normal_iteratorINS9_10device_ptrIiEEEESE_iNS9_4plusIvEEiEEDaPvRmT3_T4_T5_mT6_P12ihipStream_tbENKUlT_T0_E_clISt17integral_constantIbLb1EESU_EEDaSP_SQ_EUlSP_E_NS1_11comp_targetILNS1_3genE3ELNS1_11target_archE908ELNS1_3gpuE7ELNS1_3repE0EEENS1_30default_config_static_selectorELNS0_4arch9wavefront6targetE0EEEvT1_.kd
    .uniform_work_group_size: 1
    .uses_dynamic_stack: false
    .vgpr_count:     0
    .vgpr_spill_count: 0
    .wavefront_size: 32
    .workgroup_processor_mode: 1
  - .args:
      - .offset:         0
        .size:           96
        .value_kind:     by_value
    .group_segment_fixed_size: 0
    .kernarg_segment_align: 8
    .kernarg_segment_size: 96
    .language:       OpenCL C
    .language_version:
      - 2
      - 0
    .max_flat_workgroup_size: 256
    .name:           _ZN7rocprim17ROCPRIM_400000_NS6detail17trampoline_kernelINS0_14default_configENS1_20scan_config_selectorIiEEZZNS1_9scan_implILNS1_25lookback_scan_determinismE0ELb0ELb0ES3_N6thrust23THRUST_200600_302600_NS6detail15normal_iteratorINS9_10device_ptrIiEEEESE_iNS9_4plusIvEEiEEDaPvRmT3_T4_T5_mT6_P12ihipStream_tbENKUlT_T0_E_clISt17integral_constantIbLb1EESU_EEDaSP_SQ_EUlSP_E_NS1_11comp_targetILNS1_3genE2ELNS1_11target_archE906ELNS1_3gpuE6ELNS1_3repE0EEENS1_30default_config_static_selectorELNS0_4arch9wavefront6targetE0EEEvT1_
    .private_segment_fixed_size: 0
    .sgpr_count:     0
    .sgpr_spill_count: 0
    .symbol:         _ZN7rocprim17ROCPRIM_400000_NS6detail17trampoline_kernelINS0_14default_configENS1_20scan_config_selectorIiEEZZNS1_9scan_implILNS1_25lookback_scan_determinismE0ELb0ELb0ES3_N6thrust23THRUST_200600_302600_NS6detail15normal_iteratorINS9_10device_ptrIiEEEESE_iNS9_4plusIvEEiEEDaPvRmT3_T4_T5_mT6_P12ihipStream_tbENKUlT_T0_E_clISt17integral_constantIbLb1EESU_EEDaSP_SQ_EUlSP_E_NS1_11comp_targetILNS1_3genE2ELNS1_11target_archE906ELNS1_3gpuE6ELNS1_3repE0EEENS1_30default_config_static_selectorELNS0_4arch9wavefront6targetE0EEEvT1_.kd
    .uniform_work_group_size: 1
    .uses_dynamic_stack: false
    .vgpr_count:     0
    .vgpr_spill_count: 0
    .wavefront_size: 32
    .workgroup_processor_mode: 1
  - .args:
      - .offset:         0
        .size:           96
        .value_kind:     by_value
    .group_segment_fixed_size: 0
    .kernarg_segment_align: 8
    .kernarg_segment_size: 96
    .language:       OpenCL C
    .language_version:
      - 2
      - 0
    .max_flat_workgroup_size: 256
    .name:           _ZN7rocprim17ROCPRIM_400000_NS6detail17trampoline_kernelINS0_14default_configENS1_20scan_config_selectorIiEEZZNS1_9scan_implILNS1_25lookback_scan_determinismE0ELb0ELb0ES3_N6thrust23THRUST_200600_302600_NS6detail15normal_iteratorINS9_10device_ptrIiEEEESE_iNS9_4plusIvEEiEEDaPvRmT3_T4_T5_mT6_P12ihipStream_tbENKUlT_T0_E_clISt17integral_constantIbLb1EESU_EEDaSP_SQ_EUlSP_E_NS1_11comp_targetILNS1_3genE10ELNS1_11target_archE1201ELNS1_3gpuE5ELNS1_3repE0EEENS1_30default_config_static_selectorELNS0_4arch9wavefront6targetE0EEEvT1_
    .private_segment_fixed_size: 0
    .sgpr_count:     0
    .sgpr_spill_count: 0
    .symbol:         _ZN7rocprim17ROCPRIM_400000_NS6detail17trampoline_kernelINS0_14default_configENS1_20scan_config_selectorIiEEZZNS1_9scan_implILNS1_25lookback_scan_determinismE0ELb0ELb0ES3_N6thrust23THRUST_200600_302600_NS6detail15normal_iteratorINS9_10device_ptrIiEEEESE_iNS9_4plusIvEEiEEDaPvRmT3_T4_T5_mT6_P12ihipStream_tbENKUlT_T0_E_clISt17integral_constantIbLb1EESU_EEDaSP_SQ_EUlSP_E_NS1_11comp_targetILNS1_3genE10ELNS1_11target_archE1201ELNS1_3gpuE5ELNS1_3repE0EEENS1_30default_config_static_selectorELNS0_4arch9wavefront6targetE0EEEvT1_.kd
    .uniform_work_group_size: 1
    .uses_dynamic_stack: false
    .vgpr_count:     0
    .vgpr_spill_count: 0
    .wavefront_size: 32
    .workgroup_processor_mode: 1
  - .args:
      - .offset:         0
        .size:           96
        .value_kind:     by_value
    .group_segment_fixed_size: 0
    .kernarg_segment_align: 8
    .kernarg_segment_size: 96
    .language:       OpenCL C
    .language_version:
      - 2
      - 0
    .max_flat_workgroup_size: 256
    .name:           _ZN7rocprim17ROCPRIM_400000_NS6detail17trampoline_kernelINS0_14default_configENS1_20scan_config_selectorIiEEZZNS1_9scan_implILNS1_25lookback_scan_determinismE0ELb0ELb0ES3_N6thrust23THRUST_200600_302600_NS6detail15normal_iteratorINS9_10device_ptrIiEEEESE_iNS9_4plusIvEEiEEDaPvRmT3_T4_T5_mT6_P12ihipStream_tbENKUlT_T0_E_clISt17integral_constantIbLb1EESU_EEDaSP_SQ_EUlSP_E_NS1_11comp_targetILNS1_3genE10ELNS1_11target_archE1200ELNS1_3gpuE4ELNS1_3repE0EEENS1_30default_config_static_selectorELNS0_4arch9wavefront6targetE0EEEvT1_
    .private_segment_fixed_size: 0
    .sgpr_count:     0
    .sgpr_spill_count: 0
    .symbol:         _ZN7rocprim17ROCPRIM_400000_NS6detail17trampoline_kernelINS0_14default_configENS1_20scan_config_selectorIiEEZZNS1_9scan_implILNS1_25lookback_scan_determinismE0ELb0ELb0ES3_N6thrust23THRUST_200600_302600_NS6detail15normal_iteratorINS9_10device_ptrIiEEEESE_iNS9_4plusIvEEiEEDaPvRmT3_T4_T5_mT6_P12ihipStream_tbENKUlT_T0_E_clISt17integral_constantIbLb1EESU_EEDaSP_SQ_EUlSP_E_NS1_11comp_targetILNS1_3genE10ELNS1_11target_archE1200ELNS1_3gpuE4ELNS1_3repE0EEENS1_30default_config_static_selectorELNS0_4arch9wavefront6targetE0EEEvT1_.kd
    .uniform_work_group_size: 1
    .uses_dynamic_stack: false
    .vgpr_count:     0
    .vgpr_spill_count: 0
    .wavefront_size: 32
    .workgroup_processor_mode: 1
  - .args:
      - .offset:         0
        .size:           96
        .value_kind:     by_value
    .group_segment_fixed_size: 4224
    .kernarg_segment_align: 8
    .kernarg_segment_size: 96
    .language:       OpenCL C
    .language_version:
      - 2
      - 0
    .max_flat_workgroup_size: 256
    .name:           _ZN7rocprim17ROCPRIM_400000_NS6detail17trampoline_kernelINS0_14default_configENS1_20scan_config_selectorIiEEZZNS1_9scan_implILNS1_25lookback_scan_determinismE0ELb0ELb0ES3_N6thrust23THRUST_200600_302600_NS6detail15normal_iteratorINS9_10device_ptrIiEEEESE_iNS9_4plusIvEEiEEDaPvRmT3_T4_T5_mT6_P12ihipStream_tbENKUlT_T0_E_clISt17integral_constantIbLb1EESU_EEDaSP_SQ_EUlSP_E_NS1_11comp_targetILNS1_3genE9ELNS1_11target_archE1100ELNS1_3gpuE3ELNS1_3repE0EEENS1_30default_config_static_selectorELNS0_4arch9wavefront6targetE0EEEvT1_
    .private_segment_fixed_size: 0
    .sgpr_count:     30
    .sgpr_spill_count: 0
    .symbol:         _ZN7rocprim17ROCPRIM_400000_NS6detail17trampoline_kernelINS0_14default_configENS1_20scan_config_selectorIiEEZZNS1_9scan_implILNS1_25lookback_scan_determinismE0ELb0ELb0ES3_N6thrust23THRUST_200600_302600_NS6detail15normal_iteratorINS9_10device_ptrIiEEEESE_iNS9_4plusIvEEiEEDaPvRmT3_T4_T5_mT6_P12ihipStream_tbENKUlT_T0_E_clISt17integral_constantIbLb1EESU_EEDaSP_SQ_EUlSP_E_NS1_11comp_targetILNS1_3genE9ELNS1_11target_archE1100ELNS1_3gpuE3ELNS1_3repE0EEENS1_30default_config_static_selectorELNS0_4arch9wavefront6targetE0EEEvT1_.kd
    .uniform_work_group_size: 1
    .uses_dynamic_stack: false
    .vgpr_count:     32
    .vgpr_spill_count: 0
    .wavefront_size: 32
    .workgroup_processor_mode: 1
  - .args:
      - .offset:         0
        .size:           96
        .value_kind:     by_value
    .group_segment_fixed_size: 0
    .kernarg_segment_align: 8
    .kernarg_segment_size: 96
    .language:       OpenCL C
    .language_version:
      - 2
      - 0
    .max_flat_workgroup_size: 64
    .name:           _ZN7rocprim17ROCPRIM_400000_NS6detail17trampoline_kernelINS0_14default_configENS1_20scan_config_selectorIiEEZZNS1_9scan_implILNS1_25lookback_scan_determinismE0ELb0ELb0ES3_N6thrust23THRUST_200600_302600_NS6detail15normal_iteratorINS9_10device_ptrIiEEEESE_iNS9_4plusIvEEiEEDaPvRmT3_T4_T5_mT6_P12ihipStream_tbENKUlT_T0_E_clISt17integral_constantIbLb1EESU_EEDaSP_SQ_EUlSP_E_NS1_11comp_targetILNS1_3genE8ELNS1_11target_archE1030ELNS1_3gpuE2ELNS1_3repE0EEENS1_30default_config_static_selectorELNS0_4arch9wavefront6targetE0EEEvT1_
    .private_segment_fixed_size: 0
    .sgpr_count:     0
    .sgpr_spill_count: 0
    .symbol:         _ZN7rocprim17ROCPRIM_400000_NS6detail17trampoline_kernelINS0_14default_configENS1_20scan_config_selectorIiEEZZNS1_9scan_implILNS1_25lookback_scan_determinismE0ELb0ELb0ES3_N6thrust23THRUST_200600_302600_NS6detail15normal_iteratorINS9_10device_ptrIiEEEESE_iNS9_4plusIvEEiEEDaPvRmT3_T4_T5_mT6_P12ihipStream_tbENKUlT_T0_E_clISt17integral_constantIbLb1EESU_EEDaSP_SQ_EUlSP_E_NS1_11comp_targetILNS1_3genE8ELNS1_11target_archE1030ELNS1_3gpuE2ELNS1_3repE0EEENS1_30default_config_static_selectorELNS0_4arch9wavefront6targetE0EEEvT1_.kd
    .uniform_work_group_size: 1
    .uses_dynamic_stack: false
    .vgpr_count:     0
    .vgpr_spill_count: 0
    .wavefront_size: 32
    .workgroup_processor_mode: 1
  - .args:
      - .offset:         0
        .size:           32
        .value_kind:     by_value
    .group_segment_fixed_size: 0
    .kernarg_segment_align: 8
    .kernarg_segment_size: 32
    .language:       OpenCL C
    .language_version:
      - 2
      - 0
    .max_flat_workgroup_size: 256
    .name:           _ZN7rocprim17ROCPRIM_400000_NS6detail17trampoline_kernelINS0_14default_configENS1_20scan_config_selectorIiEEZZNS1_9scan_implILNS1_25lookback_scan_determinismE0ELb0ELb0ES3_N6thrust23THRUST_200600_302600_NS6detail15normal_iteratorINS9_10device_ptrIiEEEESE_iNS9_4plusIvEEiEEDaPvRmT3_T4_T5_mT6_P12ihipStream_tbENKUlT_T0_E_clISt17integral_constantIbLb1EESU_EEDaSP_SQ_EUlSP_E0_NS1_11comp_targetILNS1_3genE0ELNS1_11target_archE4294967295ELNS1_3gpuE0ELNS1_3repE0EEENS1_30default_config_static_selectorELNS0_4arch9wavefront6targetE0EEEvT1_
    .private_segment_fixed_size: 0
    .sgpr_count:     0
    .sgpr_spill_count: 0
    .symbol:         _ZN7rocprim17ROCPRIM_400000_NS6detail17trampoline_kernelINS0_14default_configENS1_20scan_config_selectorIiEEZZNS1_9scan_implILNS1_25lookback_scan_determinismE0ELb0ELb0ES3_N6thrust23THRUST_200600_302600_NS6detail15normal_iteratorINS9_10device_ptrIiEEEESE_iNS9_4plusIvEEiEEDaPvRmT3_T4_T5_mT6_P12ihipStream_tbENKUlT_T0_E_clISt17integral_constantIbLb1EESU_EEDaSP_SQ_EUlSP_E0_NS1_11comp_targetILNS1_3genE0ELNS1_11target_archE4294967295ELNS1_3gpuE0ELNS1_3repE0EEENS1_30default_config_static_selectorELNS0_4arch9wavefront6targetE0EEEvT1_.kd
    .uniform_work_group_size: 1
    .uses_dynamic_stack: false
    .vgpr_count:     0
    .vgpr_spill_count: 0
    .wavefront_size: 32
    .workgroup_processor_mode: 1
  - .args:
      - .offset:         0
        .size:           32
        .value_kind:     by_value
    .group_segment_fixed_size: 0
    .kernarg_segment_align: 8
    .kernarg_segment_size: 32
    .language:       OpenCL C
    .language_version:
      - 2
      - 0
    .max_flat_workgroup_size: 256
    .name:           _ZN7rocprim17ROCPRIM_400000_NS6detail17trampoline_kernelINS0_14default_configENS1_20scan_config_selectorIiEEZZNS1_9scan_implILNS1_25lookback_scan_determinismE0ELb0ELb0ES3_N6thrust23THRUST_200600_302600_NS6detail15normal_iteratorINS9_10device_ptrIiEEEESE_iNS9_4plusIvEEiEEDaPvRmT3_T4_T5_mT6_P12ihipStream_tbENKUlT_T0_E_clISt17integral_constantIbLb1EESU_EEDaSP_SQ_EUlSP_E0_NS1_11comp_targetILNS1_3genE5ELNS1_11target_archE942ELNS1_3gpuE9ELNS1_3repE0EEENS1_30default_config_static_selectorELNS0_4arch9wavefront6targetE0EEEvT1_
    .private_segment_fixed_size: 0
    .sgpr_count:     0
    .sgpr_spill_count: 0
    .symbol:         _ZN7rocprim17ROCPRIM_400000_NS6detail17trampoline_kernelINS0_14default_configENS1_20scan_config_selectorIiEEZZNS1_9scan_implILNS1_25lookback_scan_determinismE0ELb0ELb0ES3_N6thrust23THRUST_200600_302600_NS6detail15normal_iteratorINS9_10device_ptrIiEEEESE_iNS9_4plusIvEEiEEDaPvRmT3_T4_T5_mT6_P12ihipStream_tbENKUlT_T0_E_clISt17integral_constantIbLb1EESU_EEDaSP_SQ_EUlSP_E0_NS1_11comp_targetILNS1_3genE5ELNS1_11target_archE942ELNS1_3gpuE9ELNS1_3repE0EEENS1_30default_config_static_selectorELNS0_4arch9wavefront6targetE0EEEvT1_.kd
    .uniform_work_group_size: 1
    .uses_dynamic_stack: false
    .vgpr_count:     0
    .vgpr_spill_count: 0
    .wavefront_size: 32
    .workgroup_processor_mode: 1
  - .args:
      - .offset:         0
        .size:           32
        .value_kind:     by_value
    .group_segment_fixed_size: 0
    .kernarg_segment_align: 8
    .kernarg_segment_size: 32
    .language:       OpenCL C
    .language_version:
      - 2
      - 0
    .max_flat_workgroup_size: 128
    .name:           _ZN7rocprim17ROCPRIM_400000_NS6detail17trampoline_kernelINS0_14default_configENS1_20scan_config_selectorIiEEZZNS1_9scan_implILNS1_25lookback_scan_determinismE0ELb0ELb0ES3_N6thrust23THRUST_200600_302600_NS6detail15normal_iteratorINS9_10device_ptrIiEEEESE_iNS9_4plusIvEEiEEDaPvRmT3_T4_T5_mT6_P12ihipStream_tbENKUlT_T0_E_clISt17integral_constantIbLb1EESU_EEDaSP_SQ_EUlSP_E0_NS1_11comp_targetILNS1_3genE4ELNS1_11target_archE910ELNS1_3gpuE8ELNS1_3repE0EEENS1_30default_config_static_selectorELNS0_4arch9wavefront6targetE0EEEvT1_
    .private_segment_fixed_size: 0
    .sgpr_count:     0
    .sgpr_spill_count: 0
    .symbol:         _ZN7rocprim17ROCPRIM_400000_NS6detail17trampoline_kernelINS0_14default_configENS1_20scan_config_selectorIiEEZZNS1_9scan_implILNS1_25lookback_scan_determinismE0ELb0ELb0ES3_N6thrust23THRUST_200600_302600_NS6detail15normal_iteratorINS9_10device_ptrIiEEEESE_iNS9_4plusIvEEiEEDaPvRmT3_T4_T5_mT6_P12ihipStream_tbENKUlT_T0_E_clISt17integral_constantIbLb1EESU_EEDaSP_SQ_EUlSP_E0_NS1_11comp_targetILNS1_3genE4ELNS1_11target_archE910ELNS1_3gpuE8ELNS1_3repE0EEENS1_30default_config_static_selectorELNS0_4arch9wavefront6targetE0EEEvT1_.kd
    .uniform_work_group_size: 1
    .uses_dynamic_stack: false
    .vgpr_count:     0
    .vgpr_spill_count: 0
    .wavefront_size: 32
    .workgroup_processor_mode: 1
  - .args:
      - .offset:         0
        .size:           32
        .value_kind:     by_value
    .group_segment_fixed_size: 0
    .kernarg_segment_align: 8
    .kernarg_segment_size: 32
    .language:       OpenCL C
    .language_version:
      - 2
      - 0
    .max_flat_workgroup_size: 256
    .name:           _ZN7rocprim17ROCPRIM_400000_NS6detail17trampoline_kernelINS0_14default_configENS1_20scan_config_selectorIiEEZZNS1_9scan_implILNS1_25lookback_scan_determinismE0ELb0ELb0ES3_N6thrust23THRUST_200600_302600_NS6detail15normal_iteratorINS9_10device_ptrIiEEEESE_iNS9_4plusIvEEiEEDaPvRmT3_T4_T5_mT6_P12ihipStream_tbENKUlT_T0_E_clISt17integral_constantIbLb1EESU_EEDaSP_SQ_EUlSP_E0_NS1_11comp_targetILNS1_3genE3ELNS1_11target_archE908ELNS1_3gpuE7ELNS1_3repE0EEENS1_30default_config_static_selectorELNS0_4arch9wavefront6targetE0EEEvT1_
    .private_segment_fixed_size: 0
    .sgpr_count:     0
    .sgpr_spill_count: 0
    .symbol:         _ZN7rocprim17ROCPRIM_400000_NS6detail17trampoline_kernelINS0_14default_configENS1_20scan_config_selectorIiEEZZNS1_9scan_implILNS1_25lookback_scan_determinismE0ELb0ELb0ES3_N6thrust23THRUST_200600_302600_NS6detail15normal_iteratorINS9_10device_ptrIiEEEESE_iNS9_4plusIvEEiEEDaPvRmT3_T4_T5_mT6_P12ihipStream_tbENKUlT_T0_E_clISt17integral_constantIbLb1EESU_EEDaSP_SQ_EUlSP_E0_NS1_11comp_targetILNS1_3genE3ELNS1_11target_archE908ELNS1_3gpuE7ELNS1_3repE0EEENS1_30default_config_static_selectorELNS0_4arch9wavefront6targetE0EEEvT1_.kd
    .uniform_work_group_size: 1
    .uses_dynamic_stack: false
    .vgpr_count:     0
    .vgpr_spill_count: 0
    .wavefront_size: 32
    .workgroup_processor_mode: 1
  - .args:
      - .offset:         0
        .size:           32
        .value_kind:     by_value
    .group_segment_fixed_size: 0
    .kernarg_segment_align: 8
    .kernarg_segment_size: 32
    .language:       OpenCL C
    .language_version:
      - 2
      - 0
    .max_flat_workgroup_size: 256
    .name:           _ZN7rocprim17ROCPRIM_400000_NS6detail17trampoline_kernelINS0_14default_configENS1_20scan_config_selectorIiEEZZNS1_9scan_implILNS1_25lookback_scan_determinismE0ELb0ELb0ES3_N6thrust23THRUST_200600_302600_NS6detail15normal_iteratorINS9_10device_ptrIiEEEESE_iNS9_4plusIvEEiEEDaPvRmT3_T4_T5_mT6_P12ihipStream_tbENKUlT_T0_E_clISt17integral_constantIbLb1EESU_EEDaSP_SQ_EUlSP_E0_NS1_11comp_targetILNS1_3genE2ELNS1_11target_archE906ELNS1_3gpuE6ELNS1_3repE0EEENS1_30default_config_static_selectorELNS0_4arch9wavefront6targetE0EEEvT1_
    .private_segment_fixed_size: 0
    .sgpr_count:     0
    .sgpr_spill_count: 0
    .symbol:         _ZN7rocprim17ROCPRIM_400000_NS6detail17trampoline_kernelINS0_14default_configENS1_20scan_config_selectorIiEEZZNS1_9scan_implILNS1_25lookback_scan_determinismE0ELb0ELb0ES3_N6thrust23THRUST_200600_302600_NS6detail15normal_iteratorINS9_10device_ptrIiEEEESE_iNS9_4plusIvEEiEEDaPvRmT3_T4_T5_mT6_P12ihipStream_tbENKUlT_T0_E_clISt17integral_constantIbLb1EESU_EEDaSP_SQ_EUlSP_E0_NS1_11comp_targetILNS1_3genE2ELNS1_11target_archE906ELNS1_3gpuE6ELNS1_3repE0EEENS1_30default_config_static_selectorELNS0_4arch9wavefront6targetE0EEEvT1_.kd
    .uniform_work_group_size: 1
    .uses_dynamic_stack: false
    .vgpr_count:     0
    .vgpr_spill_count: 0
    .wavefront_size: 32
    .workgroup_processor_mode: 1
  - .args:
      - .offset:         0
        .size:           32
        .value_kind:     by_value
    .group_segment_fixed_size: 0
    .kernarg_segment_align: 8
    .kernarg_segment_size: 32
    .language:       OpenCL C
    .language_version:
      - 2
      - 0
    .max_flat_workgroup_size: 256
    .name:           _ZN7rocprim17ROCPRIM_400000_NS6detail17trampoline_kernelINS0_14default_configENS1_20scan_config_selectorIiEEZZNS1_9scan_implILNS1_25lookback_scan_determinismE0ELb0ELb0ES3_N6thrust23THRUST_200600_302600_NS6detail15normal_iteratorINS9_10device_ptrIiEEEESE_iNS9_4plusIvEEiEEDaPvRmT3_T4_T5_mT6_P12ihipStream_tbENKUlT_T0_E_clISt17integral_constantIbLb1EESU_EEDaSP_SQ_EUlSP_E0_NS1_11comp_targetILNS1_3genE10ELNS1_11target_archE1201ELNS1_3gpuE5ELNS1_3repE0EEENS1_30default_config_static_selectorELNS0_4arch9wavefront6targetE0EEEvT1_
    .private_segment_fixed_size: 0
    .sgpr_count:     0
    .sgpr_spill_count: 0
    .symbol:         _ZN7rocprim17ROCPRIM_400000_NS6detail17trampoline_kernelINS0_14default_configENS1_20scan_config_selectorIiEEZZNS1_9scan_implILNS1_25lookback_scan_determinismE0ELb0ELb0ES3_N6thrust23THRUST_200600_302600_NS6detail15normal_iteratorINS9_10device_ptrIiEEEESE_iNS9_4plusIvEEiEEDaPvRmT3_T4_T5_mT6_P12ihipStream_tbENKUlT_T0_E_clISt17integral_constantIbLb1EESU_EEDaSP_SQ_EUlSP_E0_NS1_11comp_targetILNS1_3genE10ELNS1_11target_archE1201ELNS1_3gpuE5ELNS1_3repE0EEENS1_30default_config_static_selectorELNS0_4arch9wavefront6targetE0EEEvT1_.kd
    .uniform_work_group_size: 1
    .uses_dynamic_stack: false
    .vgpr_count:     0
    .vgpr_spill_count: 0
    .wavefront_size: 32
    .workgroup_processor_mode: 1
  - .args:
      - .offset:         0
        .size:           32
        .value_kind:     by_value
    .group_segment_fixed_size: 0
    .kernarg_segment_align: 8
    .kernarg_segment_size: 32
    .language:       OpenCL C
    .language_version:
      - 2
      - 0
    .max_flat_workgroup_size: 256
    .name:           _ZN7rocprim17ROCPRIM_400000_NS6detail17trampoline_kernelINS0_14default_configENS1_20scan_config_selectorIiEEZZNS1_9scan_implILNS1_25lookback_scan_determinismE0ELb0ELb0ES3_N6thrust23THRUST_200600_302600_NS6detail15normal_iteratorINS9_10device_ptrIiEEEESE_iNS9_4plusIvEEiEEDaPvRmT3_T4_T5_mT6_P12ihipStream_tbENKUlT_T0_E_clISt17integral_constantIbLb1EESU_EEDaSP_SQ_EUlSP_E0_NS1_11comp_targetILNS1_3genE10ELNS1_11target_archE1200ELNS1_3gpuE4ELNS1_3repE0EEENS1_30default_config_static_selectorELNS0_4arch9wavefront6targetE0EEEvT1_
    .private_segment_fixed_size: 0
    .sgpr_count:     0
    .sgpr_spill_count: 0
    .symbol:         _ZN7rocprim17ROCPRIM_400000_NS6detail17trampoline_kernelINS0_14default_configENS1_20scan_config_selectorIiEEZZNS1_9scan_implILNS1_25lookback_scan_determinismE0ELb0ELb0ES3_N6thrust23THRUST_200600_302600_NS6detail15normal_iteratorINS9_10device_ptrIiEEEESE_iNS9_4plusIvEEiEEDaPvRmT3_T4_T5_mT6_P12ihipStream_tbENKUlT_T0_E_clISt17integral_constantIbLb1EESU_EEDaSP_SQ_EUlSP_E0_NS1_11comp_targetILNS1_3genE10ELNS1_11target_archE1200ELNS1_3gpuE4ELNS1_3repE0EEENS1_30default_config_static_selectorELNS0_4arch9wavefront6targetE0EEEvT1_.kd
    .uniform_work_group_size: 1
    .uses_dynamic_stack: false
    .vgpr_count:     0
    .vgpr_spill_count: 0
    .wavefront_size: 32
    .workgroup_processor_mode: 1
  - .args:
      - .offset:         0
        .size:           32
        .value_kind:     by_value
    .group_segment_fixed_size: 4224
    .kernarg_segment_align: 8
    .kernarg_segment_size: 32
    .language:       OpenCL C
    .language_version:
      - 2
      - 0
    .max_flat_workgroup_size: 256
    .name:           _ZN7rocprim17ROCPRIM_400000_NS6detail17trampoline_kernelINS0_14default_configENS1_20scan_config_selectorIiEEZZNS1_9scan_implILNS1_25lookback_scan_determinismE0ELb0ELb0ES3_N6thrust23THRUST_200600_302600_NS6detail15normal_iteratorINS9_10device_ptrIiEEEESE_iNS9_4plusIvEEiEEDaPvRmT3_T4_T5_mT6_P12ihipStream_tbENKUlT_T0_E_clISt17integral_constantIbLb1EESU_EEDaSP_SQ_EUlSP_E0_NS1_11comp_targetILNS1_3genE9ELNS1_11target_archE1100ELNS1_3gpuE3ELNS1_3repE0EEENS1_30default_config_static_selectorELNS0_4arch9wavefront6targetE0EEEvT1_
    .private_segment_fixed_size: 0
    .sgpr_count:     14
    .sgpr_spill_count: 0
    .symbol:         _ZN7rocprim17ROCPRIM_400000_NS6detail17trampoline_kernelINS0_14default_configENS1_20scan_config_selectorIiEEZZNS1_9scan_implILNS1_25lookback_scan_determinismE0ELb0ELb0ES3_N6thrust23THRUST_200600_302600_NS6detail15normal_iteratorINS9_10device_ptrIiEEEESE_iNS9_4plusIvEEiEEDaPvRmT3_T4_T5_mT6_P12ihipStream_tbENKUlT_T0_E_clISt17integral_constantIbLb1EESU_EEDaSP_SQ_EUlSP_E0_NS1_11comp_targetILNS1_3genE9ELNS1_11target_archE1100ELNS1_3gpuE3ELNS1_3repE0EEENS1_30default_config_static_selectorELNS0_4arch9wavefront6targetE0EEEvT1_.kd
    .uniform_work_group_size: 1
    .uses_dynamic_stack: false
    .vgpr_count:     23
    .vgpr_spill_count: 0
    .wavefront_size: 32
    .workgroup_processor_mode: 1
  - .args:
      - .offset:         0
        .size:           32
        .value_kind:     by_value
    .group_segment_fixed_size: 0
    .kernarg_segment_align: 8
    .kernarg_segment_size: 32
    .language:       OpenCL C
    .language_version:
      - 2
      - 0
    .max_flat_workgroup_size: 64
    .name:           _ZN7rocprim17ROCPRIM_400000_NS6detail17trampoline_kernelINS0_14default_configENS1_20scan_config_selectorIiEEZZNS1_9scan_implILNS1_25lookback_scan_determinismE0ELb0ELb0ES3_N6thrust23THRUST_200600_302600_NS6detail15normal_iteratorINS9_10device_ptrIiEEEESE_iNS9_4plusIvEEiEEDaPvRmT3_T4_T5_mT6_P12ihipStream_tbENKUlT_T0_E_clISt17integral_constantIbLb1EESU_EEDaSP_SQ_EUlSP_E0_NS1_11comp_targetILNS1_3genE8ELNS1_11target_archE1030ELNS1_3gpuE2ELNS1_3repE0EEENS1_30default_config_static_selectorELNS0_4arch9wavefront6targetE0EEEvT1_
    .private_segment_fixed_size: 0
    .sgpr_count:     0
    .sgpr_spill_count: 0
    .symbol:         _ZN7rocprim17ROCPRIM_400000_NS6detail17trampoline_kernelINS0_14default_configENS1_20scan_config_selectorIiEEZZNS1_9scan_implILNS1_25lookback_scan_determinismE0ELb0ELb0ES3_N6thrust23THRUST_200600_302600_NS6detail15normal_iteratorINS9_10device_ptrIiEEEESE_iNS9_4plusIvEEiEEDaPvRmT3_T4_T5_mT6_P12ihipStream_tbENKUlT_T0_E_clISt17integral_constantIbLb1EESU_EEDaSP_SQ_EUlSP_E0_NS1_11comp_targetILNS1_3genE8ELNS1_11target_archE1030ELNS1_3gpuE2ELNS1_3repE0EEENS1_30default_config_static_selectorELNS0_4arch9wavefront6targetE0EEEvT1_.kd
    .uniform_work_group_size: 1
    .uses_dynamic_stack: false
    .vgpr_count:     0
    .vgpr_spill_count: 0
    .wavefront_size: 32
    .workgroup_processor_mode: 1
  - .args:
      - .address_space:  global
        .offset:         0
        .size:           8
        .value_kind:     global_buffer
      - .offset:         8
        .size:           4
        .value_kind:     by_value
      - .offset:         12
        .size:           1
        .value_kind:     by_value
      - .offset:         16
        .size:           4
        .value_kind:     by_value
      - .address_space:  global
        .offset:         24
        .size:           8
        .value_kind:     global_buffer
      - .offset:         32
        .size:           4
        .value_kind:     hidden_block_count_x
      - .offset:         36
        .size:           4
        .value_kind:     hidden_block_count_y
      - .offset:         40
        .size:           4
        .value_kind:     hidden_block_count_z
      - .offset:         44
        .size:           2
        .value_kind:     hidden_group_size_x
      - .offset:         46
        .size:           2
        .value_kind:     hidden_group_size_y
      - .offset:         48
        .size:           2
        .value_kind:     hidden_group_size_z
      - .offset:         50
        .size:           2
        .value_kind:     hidden_remainder_x
      - .offset:         52
        .size:           2
        .value_kind:     hidden_remainder_y
      - .offset:         54
        .size:           2
        .value_kind:     hidden_remainder_z
      - .offset:         72
        .size:           8
        .value_kind:     hidden_global_offset_x
      - .offset:         80
        .size:           8
        .value_kind:     hidden_global_offset_y
      - .offset:         88
        .size:           8
        .value_kind:     hidden_global_offset_z
      - .offset:         96
        .size:           2
        .value_kind:     hidden_grid_dims
    .group_segment_fixed_size: 0
    .kernarg_segment_align: 8
    .kernarg_segment_size: 288
    .language:       OpenCL C
    .language_version:
      - 2
      - 0
    .max_flat_workgroup_size: 256
    .name:           _ZN7rocprim17ROCPRIM_400000_NS6detail31init_lookback_scan_state_kernelINS1_19lookback_scan_stateIiLb1ELb1EEENS1_16block_id_wrapperIjLb0EEEEEvT_jT0_jPNS7_10value_typeE
    .private_segment_fixed_size: 0
    .sgpr_count:     18
    .sgpr_spill_count: 0
    .symbol:         _ZN7rocprim17ROCPRIM_400000_NS6detail31init_lookback_scan_state_kernelINS1_19lookback_scan_stateIiLb1ELb1EEENS1_16block_id_wrapperIjLb0EEEEEvT_jT0_jPNS7_10value_typeE.kd
    .uniform_work_group_size: 1
    .uses_dynamic_stack: false
    .vgpr_count:     6
    .vgpr_spill_count: 0
    .wavefront_size: 32
    .workgroup_processor_mode: 1
  - .args:
      - .offset:         0
        .size:           96
        .value_kind:     by_value
    .group_segment_fixed_size: 0
    .kernarg_segment_align: 8
    .kernarg_segment_size: 96
    .language:       OpenCL C
    .language_version:
      - 2
      - 0
    .max_flat_workgroup_size: 256
    .name:           _ZN7rocprim17ROCPRIM_400000_NS6detail17trampoline_kernelINS0_14default_configENS1_20scan_config_selectorIiEEZZNS1_9scan_implILNS1_25lookback_scan_determinismE0ELb0ELb0ES3_N6thrust23THRUST_200600_302600_NS6detail15normal_iteratorINS9_10device_ptrIiEEEESE_iNS9_4plusIvEEiEEDaPvRmT3_T4_T5_mT6_P12ihipStream_tbENKUlT_T0_E_clISt17integral_constantIbLb1EEST_IbLb0EEEEDaSP_SQ_EUlSP_E_NS1_11comp_targetILNS1_3genE0ELNS1_11target_archE4294967295ELNS1_3gpuE0ELNS1_3repE0EEENS1_30default_config_static_selectorELNS0_4arch9wavefront6targetE0EEEvT1_
    .private_segment_fixed_size: 0
    .sgpr_count:     0
    .sgpr_spill_count: 0
    .symbol:         _ZN7rocprim17ROCPRIM_400000_NS6detail17trampoline_kernelINS0_14default_configENS1_20scan_config_selectorIiEEZZNS1_9scan_implILNS1_25lookback_scan_determinismE0ELb0ELb0ES3_N6thrust23THRUST_200600_302600_NS6detail15normal_iteratorINS9_10device_ptrIiEEEESE_iNS9_4plusIvEEiEEDaPvRmT3_T4_T5_mT6_P12ihipStream_tbENKUlT_T0_E_clISt17integral_constantIbLb1EEST_IbLb0EEEEDaSP_SQ_EUlSP_E_NS1_11comp_targetILNS1_3genE0ELNS1_11target_archE4294967295ELNS1_3gpuE0ELNS1_3repE0EEENS1_30default_config_static_selectorELNS0_4arch9wavefront6targetE0EEEvT1_.kd
    .uniform_work_group_size: 1
    .uses_dynamic_stack: false
    .vgpr_count:     0
    .vgpr_spill_count: 0
    .wavefront_size: 32
    .workgroup_processor_mode: 1
  - .args:
      - .offset:         0
        .size:           96
        .value_kind:     by_value
    .group_segment_fixed_size: 0
    .kernarg_segment_align: 8
    .kernarg_segment_size: 96
    .language:       OpenCL C
    .language_version:
      - 2
      - 0
    .max_flat_workgroup_size: 256
    .name:           _ZN7rocprim17ROCPRIM_400000_NS6detail17trampoline_kernelINS0_14default_configENS1_20scan_config_selectorIiEEZZNS1_9scan_implILNS1_25lookback_scan_determinismE0ELb0ELb0ES3_N6thrust23THRUST_200600_302600_NS6detail15normal_iteratorINS9_10device_ptrIiEEEESE_iNS9_4plusIvEEiEEDaPvRmT3_T4_T5_mT6_P12ihipStream_tbENKUlT_T0_E_clISt17integral_constantIbLb1EEST_IbLb0EEEEDaSP_SQ_EUlSP_E_NS1_11comp_targetILNS1_3genE5ELNS1_11target_archE942ELNS1_3gpuE9ELNS1_3repE0EEENS1_30default_config_static_selectorELNS0_4arch9wavefront6targetE0EEEvT1_
    .private_segment_fixed_size: 0
    .sgpr_count:     0
    .sgpr_spill_count: 0
    .symbol:         _ZN7rocprim17ROCPRIM_400000_NS6detail17trampoline_kernelINS0_14default_configENS1_20scan_config_selectorIiEEZZNS1_9scan_implILNS1_25lookback_scan_determinismE0ELb0ELb0ES3_N6thrust23THRUST_200600_302600_NS6detail15normal_iteratorINS9_10device_ptrIiEEEESE_iNS9_4plusIvEEiEEDaPvRmT3_T4_T5_mT6_P12ihipStream_tbENKUlT_T0_E_clISt17integral_constantIbLb1EEST_IbLb0EEEEDaSP_SQ_EUlSP_E_NS1_11comp_targetILNS1_3genE5ELNS1_11target_archE942ELNS1_3gpuE9ELNS1_3repE0EEENS1_30default_config_static_selectorELNS0_4arch9wavefront6targetE0EEEvT1_.kd
    .uniform_work_group_size: 1
    .uses_dynamic_stack: false
    .vgpr_count:     0
    .vgpr_spill_count: 0
    .wavefront_size: 32
    .workgroup_processor_mode: 1
  - .args:
      - .offset:         0
        .size:           96
        .value_kind:     by_value
    .group_segment_fixed_size: 0
    .kernarg_segment_align: 8
    .kernarg_segment_size: 96
    .language:       OpenCL C
    .language_version:
      - 2
      - 0
    .max_flat_workgroup_size: 128
    .name:           _ZN7rocprim17ROCPRIM_400000_NS6detail17trampoline_kernelINS0_14default_configENS1_20scan_config_selectorIiEEZZNS1_9scan_implILNS1_25lookback_scan_determinismE0ELb0ELb0ES3_N6thrust23THRUST_200600_302600_NS6detail15normal_iteratorINS9_10device_ptrIiEEEESE_iNS9_4plusIvEEiEEDaPvRmT3_T4_T5_mT6_P12ihipStream_tbENKUlT_T0_E_clISt17integral_constantIbLb1EEST_IbLb0EEEEDaSP_SQ_EUlSP_E_NS1_11comp_targetILNS1_3genE4ELNS1_11target_archE910ELNS1_3gpuE8ELNS1_3repE0EEENS1_30default_config_static_selectorELNS0_4arch9wavefront6targetE0EEEvT1_
    .private_segment_fixed_size: 0
    .sgpr_count:     0
    .sgpr_spill_count: 0
    .symbol:         _ZN7rocprim17ROCPRIM_400000_NS6detail17trampoline_kernelINS0_14default_configENS1_20scan_config_selectorIiEEZZNS1_9scan_implILNS1_25lookback_scan_determinismE0ELb0ELb0ES3_N6thrust23THRUST_200600_302600_NS6detail15normal_iteratorINS9_10device_ptrIiEEEESE_iNS9_4plusIvEEiEEDaPvRmT3_T4_T5_mT6_P12ihipStream_tbENKUlT_T0_E_clISt17integral_constantIbLb1EEST_IbLb0EEEEDaSP_SQ_EUlSP_E_NS1_11comp_targetILNS1_3genE4ELNS1_11target_archE910ELNS1_3gpuE8ELNS1_3repE0EEENS1_30default_config_static_selectorELNS0_4arch9wavefront6targetE0EEEvT1_.kd
    .uniform_work_group_size: 1
    .uses_dynamic_stack: false
    .vgpr_count:     0
    .vgpr_spill_count: 0
    .wavefront_size: 32
    .workgroup_processor_mode: 1
  - .args:
      - .offset:         0
        .size:           96
        .value_kind:     by_value
    .group_segment_fixed_size: 0
    .kernarg_segment_align: 8
    .kernarg_segment_size: 96
    .language:       OpenCL C
    .language_version:
      - 2
      - 0
    .max_flat_workgroup_size: 256
    .name:           _ZN7rocprim17ROCPRIM_400000_NS6detail17trampoline_kernelINS0_14default_configENS1_20scan_config_selectorIiEEZZNS1_9scan_implILNS1_25lookback_scan_determinismE0ELb0ELb0ES3_N6thrust23THRUST_200600_302600_NS6detail15normal_iteratorINS9_10device_ptrIiEEEESE_iNS9_4plusIvEEiEEDaPvRmT3_T4_T5_mT6_P12ihipStream_tbENKUlT_T0_E_clISt17integral_constantIbLb1EEST_IbLb0EEEEDaSP_SQ_EUlSP_E_NS1_11comp_targetILNS1_3genE3ELNS1_11target_archE908ELNS1_3gpuE7ELNS1_3repE0EEENS1_30default_config_static_selectorELNS0_4arch9wavefront6targetE0EEEvT1_
    .private_segment_fixed_size: 0
    .sgpr_count:     0
    .sgpr_spill_count: 0
    .symbol:         _ZN7rocprim17ROCPRIM_400000_NS6detail17trampoline_kernelINS0_14default_configENS1_20scan_config_selectorIiEEZZNS1_9scan_implILNS1_25lookback_scan_determinismE0ELb0ELb0ES3_N6thrust23THRUST_200600_302600_NS6detail15normal_iteratorINS9_10device_ptrIiEEEESE_iNS9_4plusIvEEiEEDaPvRmT3_T4_T5_mT6_P12ihipStream_tbENKUlT_T0_E_clISt17integral_constantIbLb1EEST_IbLb0EEEEDaSP_SQ_EUlSP_E_NS1_11comp_targetILNS1_3genE3ELNS1_11target_archE908ELNS1_3gpuE7ELNS1_3repE0EEENS1_30default_config_static_selectorELNS0_4arch9wavefront6targetE0EEEvT1_.kd
    .uniform_work_group_size: 1
    .uses_dynamic_stack: false
    .vgpr_count:     0
    .vgpr_spill_count: 0
    .wavefront_size: 32
    .workgroup_processor_mode: 1
  - .args:
      - .offset:         0
        .size:           96
        .value_kind:     by_value
    .group_segment_fixed_size: 0
    .kernarg_segment_align: 8
    .kernarg_segment_size: 96
    .language:       OpenCL C
    .language_version:
      - 2
      - 0
    .max_flat_workgroup_size: 256
    .name:           _ZN7rocprim17ROCPRIM_400000_NS6detail17trampoline_kernelINS0_14default_configENS1_20scan_config_selectorIiEEZZNS1_9scan_implILNS1_25lookback_scan_determinismE0ELb0ELb0ES3_N6thrust23THRUST_200600_302600_NS6detail15normal_iteratorINS9_10device_ptrIiEEEESE_iNS9_4plusIvEEiEEDaPvRmT3_T4_T5_mT6_P12ihipStream_tbENKUlT_T0_E_clISt17integral_constantIbLb1EEST_IbLb0EEEEDaSP_SQ_EUlSP_E_NS1_11comp_targetILNS1_3genE2ELNS1_11target_archE906ELNS1_3gpuE6ELNS1_3repE0EEENS1_30default_config_static_selectorELNS0_4arch9wavefront6targetE0EEEvT1_
    .private_segment_fixed_size: 0
    .sgpr_count:     0
    .sgpr_spill_count: 0
    .symbol:         _ZN7rocprim17ROCPRIM_400000_NS6detail17trampoline_kernelINS0_14default_configENS1_20scan_config_selectorIiEEZZNS1_9scan_implILNS1_25lookback_scan_determinismE0ELb0ELb0ES3_N6thrust23THRUST_200600_302600_NS6detail15normal_iteratorINS9_10device_ptrIiEEEESE_iNS9_4plusIvEEiEEDaPvRmT3_T4_T5_mT6_P12ihipStream_tbENKUlT_T0_E_clISt17integral_constantIbLb1EEST_IbLb0EEEEDaSP_SQ_EUlSP_E_NS1_11comp_targetILNS1_3genE2ELNS1_11target_archE906ELNS1_3gpuE6ELNS1_3repE0EEENS1_30default_config_static_selectorELNS0_4arch9wavefront6targetE0EEEvT1_.kd
    .uniform_work_group_size: 1
    .uses_dynamic_stack: false
    .vgpr_count:     0
    .vgpr_spill_count: 0
    .wavefront_size: 32
    .workgroup_processor_mode: 1
  - .args:
      - .offset:         0
        .size:           96
        .value_kind:     by_value
    .group_segment_fixed_size: 0
    .kernarg_segment_align: 8
    .kernarg_segment_size: 96
    .language:       OpenCL C
    .language_version:
      - 2
      - 0
    .max_flat_workgroup_size: 256
    .name:           _ZN7rocprim17ROCPRIM_400000_NS6detail17trampoline_kernelINS0_14default_configENS1_20scan_config_selectorIiEEZZNS1_9scan_implILNS1_25lookback_scan_determinismE0ELb0ELb0ES3_N6thrust23THRUST_200600_302600_NS6detail15normal_iteratorINS9_10device_ptrIiEEEESE_iNS9_4plusIvEEiEEDaPvRmT3_T4_T5_mT6_P12ihipStream_tbENKUlT_T0_E_clISt17integral_constantIbLb1EEST_IbLb0EEEEDaSP_SQ_EUlSP_E_NS1_11comp_targetILNS1_3genE10ELNS1_11target_archE1201ELNS1_3gpuE5ELNS1_3repE0EEENS1_30default_config_static_selectorELNS0_4arch9wavefront6targetE0EEEvT1_
    .private_segment_fixed_size: 0
    .sgpr_count:     0
    .sgpr_spill_count: 0
    .symbol:         _ZN7rocprim17ROCPRIM_400000_NS6detail17trampoline_kernelINS0_14default_configENS1_20scan_config_selectorIiEEZZNS1_9scan_implILNS1_25lookback_scan_determinismE0ELb0ELb0ES3_N6thrust23THRUST_200600_302600_NS6detail15normal_iteratorINS9_10device_ptrIiEEEESE_iNS9_4plusIvEEiEEDaPvRmT3_T4_T5_mT6_P12ihipStream_tbENKUlT_T0_E_clISt17integral_constantIbLb1EEST_IbLb0EEEEDaSP_SQ_EUlSP_E_NS1_11comp_targetILNS1_3genE10ELNS1_11target_archE1201ELNS1_3gpuE5ELNS1_3repE0EEENS1_30default_config_static_selectorELNS0_4arch9wavefront6targetE0EEEvT1_.kd
    .uniform_work_group_size: 1
    .uses_dynamic_stack: false
    .vgpr_count:     0
    .vgpr_spill_count: 0
    .wavefront_size: 32
    .workgroup_processor_mode: 1
  - .args:
      - .offset:         0
        .size:           96
        .value_kind:     by_value
    .group_segment_fixed_size: 0
    .kernarg_segment_align: 8
    .kernarg_segment_size: 96
    .language:       OpenCL C
    .language_version:
      - 2
      - 0
    .max_flat_workgroup_size: 256
    .name:           _ZN7rocprim17ROCPRIM_400000_NS6detail17trampoline_kernelINS0_14default_configENS1_20scan_config_selectorIiEEZZNS1_9scan_implILNS1_25lookback_scan_determinismE0ELb0ELb0ES3_N6thrust23THRUST_200600_302600_NS6detail15normal_iteratorINS9_10device_ptrIiEEEESE_iNS9_4plusIvEEiEEDaPvRmT3_T4_T5_mT6_P12ihipStream_tbENKUlT_T0_E_clISt17integral_constantIbLb1EEST_IbLb0EEEEDaSP_SQ_EUlSP_E_NS1_11comp_targetILNS1_3genE10ELNS1_11target_archE1200ELNS1_3gpuE4ELNS1_3repE0EEENS1_30default_config_static_selectorELNS0_4arch9wavefront6targetE0EEEvT1_
    .private_segment_fixed_size: 0
    .sgpr_count:     0
    .sgpr_spill_count: 0
    .symbol:         _ZN7rocprim17ROCPRIM_400000_NS6detail17trampoline_kernelINS0_14default_configENS1_20scan_config_selectorIiEEZZNS1_9scan_implILNS1_25lookback_scan_determinismE0ELb0ELb0ES3_N6thrust23THRUST_200600_302600_NS6detail15normal_iteratorINS9_10device_ptrIiEEEESE_iNS9_4plusIvEEiEEDaPvRmT3_T4_T5_mT6_P12ihipStream_tbENKUlT_T0_E_clISt17integral_constantIbLb1EEST_IbLb0EEEEDaSP_SQ_EUlSP_E_NS1_11comp_targetILNS1_3genE10ELNS1_11target_archE1200ELNS1_3gpuE4ELNS1_3repE0EEENS1_30default_config_static_selectorELNS0_4arch9wavefront6targetE0EEEvT1_.kd
    .uniform_work_group_size: 1
    .uses_dynamic_stack: false
    .vgpr_count:     0
    .vgpr_spill_count: 0
    .wavefront_size: 32
    .workgroup_processor_mode: 1
  - .args:
      - .offset:         0
        .size:           96
        .value_kind:     by_value
    .group_segment_fixed_size: 4224
    .kernarg_segment_align: 8
    .kernarg_segment_size: 96
    .language:       OpenCL C
    .language_version:
      - 2
      - 0
    .max_flat_workgroup_size: 256
    .name:           _ZN7rocprim17ROCPRIM_400000_NS6detail17trampoline_kernelINS0_14default_configENS1_20scan_config_selectorIiEEZZNS1_9scan_implILNS1_25lookback_scan_determinismE0ELb0ELb0ES3_N6thrust23THRUST_200600_302600_NS6detail15normal_iteratorINS9_10device_ptrIiEEEESE_iNS9_4plusIvEEiEEDaPvRmT3_T4_T5_mT6_P12ihipStream_tbENKUlT_T0_E_clISt17integral_constantIbLb1EEST_IbLb0EEEEDaSP_SQ_EUlSP_E_NS1_11comp_targetILNS1_3genE9ELNS1_11target_archE1100ELNS1_3gpuE3ELNS1_3repE0EEENS1_30default_config_static_selectorELNS0_4arch9wavefront6targetE0EEEvT1_
    .private_segment_fixed_size: 0
    .sgpr_count:     25
    .sgpr_spill_count: 0
    .symbol:         _ZN7rocprim17ROCPRIM_400000_NS6detail17trampoline_kernelINS0_14default_configENS1_20scan_config_selectorIiEEZZNS1_9scan_implILNS1_25lookback_scan_determinismE0ELb0ELb0ES3_N6thrust23THRUST_200600_302600_NS6detail15normal_iteratorINS9_10device_ptrIiEEEESE_iNS9_4plusIvEEiEEDaPvRmT3_T4_T5_mT6_P12ihipStream_tbENKUlT_T0_E_clISt17integral_constantIbLb1EEST_IbLb0EEEEDaSP_SQ_EUlSP_E_NS1_11comp_targetILNS1_3genE9ELNS1_11target_archE1100ELNS1_3gpuE3ELNS1_3repE0EEENS1_30default_config_static_selectorELNS0_4arch9wavefront6targetE0EEEvT1_.kd
    .uniform_work_group_size: 1
    .uses_dynamic_stack: false
    .vgpr_count:     32
    .vgpr_spill_count: 0
    .wavefront_size: 32
    .workgroup_processor_mode: 1
  - .args:
      - .offset:         0
        .size:           96
        .value_kind:     by_value
    .group_segment_fixed_size: 0
    .kernarg_segment_align: 8
    .kernarg_segment_size: 96
    .language:       OpenCL C
    .language_version:
      - 2
      - 0
    .max_flat_workgroup_size: 64
    .name:           _ZN7rocprim17ROCPRIM_400000_NS6detail17trampoline_kernelINS0_14default_configENS1_20scan_config_selectorIiEEZZNS1_9scan_implILNS1_25lookback_scan_determinismE0ELb0ELb0ES3_N6thrust23THRUST_200600_302600_NS6detail15normal_iteratorINS9_10device_ptrIiEEEESE_iNS9_4plusIvEEiEEDaPvRmT3_T4_T5_mT6_P12ihipStream_tbENKUlT_T0_E_clISt17integral_constantIbLb1EEST_IbLb0EEEEDaSP_SQ_EUlSP_E_NS1_11comp_targetILNS1_3genE8ELNS1_11target_archE1030ELNS1_3gpuE2ELNS1_3repE0EEENS1_30default_config_static_selectorELNS0_4arch9wavefront6targetE0EEEvT1_
    .private_segment_fixed_size: 0
    .sgpr_count:     0
    .sgpr_spill_count: 0
    .symbol:         _ZN7rocprim17ROCPRIM_400000_NS6detail17trampoline_kernelINS0_14default_configENS1_20scan_config_selectorIiEEZZNS1_9scan_implILNS1_25lookback_scan_determinismE0ELb0ELb0ES3_N6thrust23THRUST_200600_302600_NS6detail15normal_iteratorINS9_10device_ptrIiEEEESE_iNS9_4plusIvEEiEEDaPvRmT3_T4_T5_mT6_P12ihipStream_tbENKUlT_T0_E_clISt17integral_constantIbLb1EEST_IbLb0EEEEDaSP_SQ_EUlSP_E_NS1_11comp_targetILNS1_3genE8ELNS1_11target_archE1030ELNS1_3gpuE2ELNS1_3repE0EEENS1_30default_config_static_selectorELNS0_4arch9wavefront6targetE0EEEvT1_.kd
    .uniform_work_group_size: 1
    .uses_dynamic_stack: false
    .vgpr_count:     0
    .vgpr_spill_count: 0
    .wavefront_size: 32
    .workgroup_processor_mode: 1
  - .args:
      - .offset:         0
        .size:           32
        .value_kind:     by_value
    .group_segment_fixed_size: 0
    .kernarg_segment_align: 8
    .kernarg_segment_size: 32
    .language:       OpenCL C
    .language_version:
      - 2
      - 0
    .max_flat_workgroup_size: 256
    .name:           _ZN7rocprim17ROCPRIM_400000_NS6detail17trampoline_kernelINS0_14default_configENS1_20scan_config_selectorIiEEZZNS1_9scan_implILNS1_25lookback_scan_determinismE0ELb0ELb0ES3_N6thrust23THRUST_200600_302600_NS6detail15normal_iteratorINS9_10device_ptrIiEEEESE_iNS9_4plusIvEEiEEDaPvRmT3_T4_T5_mT6_P12ihipStream_tbENKUlT_T0_E_clISt17integral_constantIbLb1EEST_IbLb0EEEEDaSP_SQ_EUlSP_E0_NS1_11comp_targetILNS1_3genE0ELNS1_11target_archE4294967295ELNS1_3gpuE0ELNS1_3repE0EEENS1_30default_config_static_selectorELNS0_4arch9wavefront6targetE0EEEvT1_
    .private_segment_fixed_size: 0
    .sgpr_count:     0
    .sgpr_spill_count: 0
    .symbol:         _ZN7rocprim17ROCPRIM_400000_NS6detail17trampoline_kernelINS0_14default_configENS1_20scan_config_selectorIiEEZZNS1_9scan_implILNS1_25lookback_scan_determinismE0ELb0ELb0ES3_N6thrust23THRUST_200600_302600_NS6detail15normal_iteratorINS9_10device_ptrIiEEEESE_iNS9_4plusIvEEiEEDaPvRmT3_T4_T5_mT6_P12ihipStream_tbENKUlT_T0_E_clISt17integral_constantIbLb1EEST_IbLb0EEEEDaSP_SQ_EUlSP_E0_NS1_11comp_targetILNS1_3genE0ELNS1_11target_archE4294967295ELNS1_3gpuE0ELNS1_3repE0EEENS1_30default_config_static_selectorELNS0_4arch9wavefront6targetE0EEEvT1_.kd
    .uniform_work_group_size: 1
    .uses_dynamic_stack: false
    .vgpr_count:     0
    .vgpr_spill_count: 0
    .wavefront_size: 32
    .workgroup_processor_mode: 1
  - .args:
      - .offset:         0
        .size:           32
        .value_kind:     by_value
    .group_segment_fixed_size: 0
    .kernarg_segment_align: 8
    .kernarg_segment_size: 32
    .language:       OpenCL C
    .language_version:
      - 2
      - 0
    .max_flat_workgroup_size: 256
    .name:           _ZN7rocprim17ROCPRIM_400000_NS6detail17trampoline_kernelINS0_14default_configENS1_20scan_config_selectorIiEEZZNS1_9scan_implILNS1_25lookback_scan_determinismE0ELb0ELb0ES3_N6thrust23THRUST_200600_302600_NS6detail15normal_iteratorINS9_10device_ptrIiEEEESE_iNS9_4plusIvEEiEEDaPvRmT3_T4_T5_mT6_P12ihipStream_tbENKUlT_T0_E_clISt17integral_constantIbLb1EEST_IbLb0EEEEDaSP_SQ_EUlSP_E0_NS1_11comp_targetILNS1_3genE5ELNS1_11target_archE942ELNS1_3gpuE9ELNS1_3repE0EEENS1_30default_config_static_selectorELNS0_4arch9wavefront6targetE0EEEvT1_
    .private_segment_fixed_size: 0
    .sgpr_count:     0
    .sgpr_spill_count: 0
    .symbol:         _ZN7rocprim17ROCPRIM_400000_NS6detail17trampoline_kernelINS0_14default_configENS1_20scan_config_selectorIiEEZZNS1_9scan_implILNS1_25lookback_scan_determinismE0ELb0ELb0ES3_N6thrust23THRUST_200600_302600_NS6detail15normal_iteratorINS9_10device_ptrIiEEEESE_iNS9_4plusIvEEiEEDaPvRmT3_T4_T5_mT6_P12ihipStream_tbENKUlT_T0_E_clISt17integral_constantIbLb1EEST_IbLb0EEEEDaSP_SQ_EUlSP_E0_NS1_11comp_targetILNS1_3genE5ELNS1_11target_archE942ELNS1_3gpuE9ELNS1_3repE0EEENS1_30default_config_static_selectorELNS0_4arch9wavefront6targetE0EEEvT1_.kd
    .uniform_work_group_size: 1
    .uses_dynamic_stack: false
    .vgpr_count:     0
    .vgpr_spill_count: 0
    .wavefront_size: 32
    .workgroup_processor_mode: 1
  - .args:
      - .offset:         0
        .size:           32
        .value_kind:     by_value
    .group_segment_fixed_size: 0
    .kernarg_segment_align: 8
    .kernarg_segment_size: 32
    .language:       OpenCL C
    .language_version:
      - 2
      - 0
    .max_flat_workgroup_size: 128
    .name:           _ZN7rocprim17ROCPRIM_400000_NS6detail17trampoline_kernelINS0_14default_configENS1_20scan_config_selectorIiEEZZNS1_9scan_implILNS1_25lookback_scan_determinismE0ELb0ELb0ES3_N6thrust23THRUST_200600_302600_NS6detail15normal_iteratorINS9_10device_ptrIiEEEESE_iNS9_4plusIvEEiEEDaPvRmT3_T4_T5_mT6_P12ihipStream_tbENKUlT_T0_E_clISt17integral_constantIbLb1EEST_IbLb0EEEEDaSP_SQ_EUlSP_E0_NS1_11comp_targetILNS1_3genE4ELNS1_11target_archE910ELNS1_3gpuE8ELNS1_3repE0EEENS1_30default_config_static_selectorELNS0_4arch9wavefront6targetE0EEEvT1_
    .private_segment_fixed_size: 0
    .sgpr_count:     0
    .sgpr_spill_count: 0
    .symbol:         _ZN7rocprim17ROCPRIM_400000_NS6detail17trampoline_kernelINS0_14default_configENS1_20scan_config_selectorIiEEZZNS1_9scan_implILNS1_25lookback_scan_determinismE0ELb0ELb0ES3_N6thrust23THRUST_200600_302600_NS6detail15normal_iteratorINS9_10device_ptrIiEEEESE_iNS9_4plusIvEEiEEDaPvRmT3_T4_T5_mT6_P12ihipStream_tbENKUlT_T0_E_clISt17integral_constantIbLb1EEST_IbLb0EEEEDaSP_SQ_EUlSP_E0_NS1_11comp_targetILNS1_3genE4ELNS1_11target_archE910ELNS1_3gpuE8ELNS1_3repE0EEENS1_30default_config_static_selectorELNS0_4arch9wavefront6targetE0EEEvT1_.kd
    .uniform_work_group_size: 1
    .uses_dynamic_stack: false
    .vgpr_count:     0
    .vgpr_spill_count: 0
    .wavefront_size: 32
    .workgroup_processor_mode: 1
  - .args:
      - .offset:         0
        .size:           32
        .value_kind:     by_value
    .group_segment_fixed_size: 0
    .kernarg_segment_align: 8
    .kernarg_segment_size: 32
    .language:       OpenCL C
    .language_version:
      - 2
      - 0
    .max_flat_workgroup_size: 256
    .name:           _ZN7rocprim17ROCPRIM_400000_NS6detail17trampoline_kernelINS0_14default_configENS1_20scan_config_selectorIiEEZZNS1_9scan_implILNS1_25lookback_scan_determinismE0ELb0ELb0ES3_N6thrust23THRUST_200600_302600_NS6detail15normal_iteratorINS9_10device_ptrIiEEEESE_iNS9_4plusIvEEiEEDaPvRmT3_T4_T5_mT6_P12ihipStream_tbENKUlT_T0_E_clISt17integral_constantIbLb1EEST_IbLb0EEEEDaSP_SQ_EUlSP_E0_NS1_11comp_targetILNS1_3genE3ELNS1_11target_archE908ELNS1_3gpuE7ELNS1_3repE0EEENS1_30default_config_static_selectorELNS0_4arch9wavefront6targetE0EEEvT1_
    .private_segment_fixed_size: 0
    .sgpr_count:     0
    .sgpr_spill_count: 0
    .symbol:         _ZN7rocprim17ROCPRIM_400000_NS6detail17trampoline_kernelINS0_14default_configENS1_20scan_config_selectorIiEEZZNS1_9scan_implILNS1_25lookback_scan_determinismE0ELb0ELb0ES3_N6thrust23THRUST_200600_302600_NS6detail15normal_iteratorINS9_10device_ptrIiEEEESE_iNS9_4plusIvEEiEEDaPvRmT3_T4_T5_mT6_P12ihipStream_tbENKUlT_T0_E_clISt17integral_constantIbLb1EEST_IbLb0EEEEDaSP_SQ_EUlSP_E0_NS1_11comp_targetILNS1_3genE3ELNS1_11target_archE908ELNS1_3gpuE7ELNS1_3repE0EEENS1_30default_config_static_selectorELNS0_4arch9wavefront6targetE0EEEvT1_.kd
    .uniform_work_group_size: 1
    .uses_dynamic_stack: false
    .vgpr_count:     0
    .vgpr_spill_count: 0
    .wavefront_size: 32
    .workgroup_processor_mode: 1
  - .args:
      - .offset:         0
        .size:           32
        .value_kind:     by_value
    .group_segment_fixed_size: 0
    .kernarg_segment_align: 8
    .kernarg_segment_size: 32
    .language:       OpenCL C
    .language_version:
      - 2
      - 0
    .max_flat_workgroup_size: 256
    .name:           _ZN7rocprim17ROCPRIM_400000_NS6detail17trampoline_kernelINS0_14default_configENS1_20scan_config_selectorIiEEZZNS1_9scan_implILNS1_25lookback_scan_determinismE0ELb0ELb0ES3_N6thrust23THRUST_200600_302600_NS6detail15normal_iteratorINS9_10device_ptrIiEEEESE_iNS9_4plusIvEEiEEDaPvRmT3_T4_T5_mT6_P12ihipStream_tbENKUlT_T0_E_clISt17integral_constantIbLb1EEST_IbLb0EEEEDaSP_SQ_EUlSP_E0_NS1_11comp_targetILNS1_3genE2ELNS1_11target_archE906ELNS1_3gpuE6ELNS1_3repE0EEENS1_30default_config_static_selectorELNS0_4arch9wavefront6targetE0EEEvT1_
    .private_segment_fixed_size: 0
    .sgpr_count:     0
    .sgpr_spill_count: 0
    .symbol:         _ZN7rocprim17ROCPRIM_400000_NS6detail17trampoline_kernelINS0_14default_configENS1_20scan_config_selectorIiEEZZNS1_9scan_implILNS1_25lookback_scan_determinismE0ELb0ELb0ES3_N6thrust23THRUST_200600_302600_NS6detail15normal_iteratorINS9_10device_ptrIiEEEESE_iNS9_4plusIvEEiEEDaPvRmT3_T4_T5_mT6_P12ihipStream_tbENKUlT_T0_E_clISt17integral_constantIbLb1EEST_IbLb0EEEEDaSP_SQ_EUlSP_E0_NS1_11comp_targetILNS1_3genE2ELNS1_11target_archE906ELNS1_3gpuE6ELNS1_3repE0EEENS1_30default_config_static_selectorELNS0_4arch9wavefront6targetE0EEEvT1_.kd
    .uniform_work_group_size: 1
    .uses_dynamic_stack: false
    .vgpr_count:     0
    .vgpr_spill_count: 0
    .wavefront_size: 32
    .workgroup_processor_mode: 1
  - .args:
      - .offset:         0
        .size:           32
        .value_kind:     by_value
    .group_segment_fixed_size: 0
    .kernarg_segment_align: 8
    .kernarg_segment_size: 32
    .language:       OpenCL C
    .language_version:
      - 2
      - 0
    .max_flat_workgroup_size: 256
    .name:           _ZN7rocprim17ROCPRIM_400000_NS6detail17trampoline_kernelINS0_14default_configENS1_20scan_config_selectorIiEEZZNS1_9scan_implILNS1_25lookback_scan_determinismE0ELb0ELb0ES3_N6thrust23THRUST_200600_302600_NS6detail15normal_iteratorINS9_10device_ptrIiEEEESE_iNS9_4plusIvEEiEEDaPvRmT3_T4_T5_mT6_P12ihipStream_tbENKUlT_T0_E_clISt17integral_constantIbLb1EEST_IbLb0EEEEDaSP_SQ_EUlSP_E0_NS1_11comp_targetILNS1_3genE10ELNS1_11target_archE1201ELNS1_3gpuE5ELNS1_3repE0EEENS1_30default_config_static_selectorELNS0_4arch9wavefront6targetE0EEEvT1_
    .private_segment_fixed_size: 0
    .sgpr_count:     0
    .sgpr_spill_count: 0
    .symbol:         _ZN7rocprim17ROCPRIM_400000_NS6detail17trampoline_kernelINS0_14default_configENS1_20scan_config_selectorIiEEZZNS1_9scan_implILNS1_25lookback_scan_determinismE0ELb0ELb0ES3_N6thrust23THRUST_200600_302600_NS6detail15normal_iteratorINS9_10device_ptrIiEEEESE_iNS9_4plusIvEEiEEDaPvRmT3_T4_T5_mT6_P12ihipStream_tbENKUlT_T0_E_clISt17integral_constantIbLb1EEST_IbLb0EEEEDaSP_SQ_EUlSP_E0_NS1_11comp_targetILNS1_3genE10ELNS1_11target_archE1201ELNS1_3gpuE5ELNS1_3repE0EEENS1_30default_config_static_selectorELNS0_4arch9wavefront6targetE0EEEvT1_.kd
    .uniform_work_group_size: 1
    .uses_dynamic_stack: false
    .vgpr_count:     0
    .vgpr_spill_count: 0
    .wavefront_size: 32
    .workgroup_processor_mode: 1
  - .args:
      - .offset:         0
        .size:           32
        .value_kind:     by_value
    .group_segment_fixed_size: 0
    .kernarg_segment_align: 8
    .kernarg_segment_size: 32
    .language:       OpenCL C
    .language_version:
      - 2
      - 0
    .max_flat_workgroup_size: 256
    .name:           _ZN7rocprim17ROCPRIM_400000_NS6detail17trampoline_kernelINS0_14default_configENS1_20scan_config_selectorIiEEZZNS1_9scan_implILNS1_25lookback_scan_determinismE0ELb0ELb0ES3_N6thrust23THRUST_200600_302600_NS6detail15normal_iteratorINS9_10device_ptrIiEEEESE_iNS9_4plusIvEEiEEDaPvRmT3_T4_T5_mT6_P12ihipStream_tbENKUlT_T0_E_clISt17integral_constantIbLb1EEST_IbLb0EEEEDaSP_SQ_EUlSP_E0_NS1_11comp_targetILNS1_3genE10ELNS1_11target_archE1200ELNS1_3gpuE4ELNS1_3repE0EEENS1_30default_config_static_selectorELNS0_4arch9wavefront6targetE0EEEvT1_
    .private_segment_fixed_size: 0
    .sgpr_count:     0
    .sgpr_spill_count: 0
    .symbol:         _ZN7rocprim17ROCPRIM_400000_NS6detail17trampoline_kernelINS0_14default_configENS1_20scan_config_selectorIiEEZZNS1_9scan_implILNS1_25lookback_scan_determinismE0ELb0ELb0ES3_N6thrust23THRUST_200600_302600_NS6detail15normal_iteratorINS9_10device_ptrIiEEEESE_iNS9_4plusIvEEiEEDaPvRmT3_T4_T5_mT6_P12ihipStream_tbENKUlT_T0_E_clISt17integral_constantIbLb1EEST_IbLb0EEEEDaSP_SQ_EUlSP_E0_NS1_11comp_targetILNS1_3genE10ELNS1_11target_archE1200ELNS1_3gpuE4ELNS1_3repE0EEENS1_30default_config_static_selectorELNS0_4arch9wavefront6targetE0EEEvT1_.kd
    .uniform_work_group_size: 1
    .uses_dynamic_stack: false
    .vgpr_count:     0
    .vgpr_spill_count: 0
    .wavefront_size: 32
    .workgroup_processor_mode: 1
  - .args:
      - .offset:         0
        .size:           32
        .value_kind:     by_value
    .group_segment_fixed_size: 4224
    .kernarg_segment_align: 8
    .kernarg_segment_size: 32
    .language:       OpenCL C
    .language_version:
      - 2
      - 0
    .max_flat_workgroup_size: 256
    .name:           _ZN7rocprim17ROCPRIM_400000_NS6detail17trampoline_kernelINS0_14default_configENS1_20scan_config_selectorIiEEZZNS1_9scan_implILNS1_25lookback_scan_determinismE0ELb0ELb0ES3_N6thrust23THRUST_200600_302600_NS6detail15normal_iteratorINS9_10device_ptrIiEEEESE_iNS9_4plusIvEEiEEDaPvRmT3_T4_T5_mT6_P12ihipStream_tbENKUlT_T0_E_clISt17integral_constantIbLb1EEST_IbLb0EEEEDaSP_SQ_EUlSP_E0_NS1_11comp_targetILNS1_3genE9ELNS1_11target_archE1100ELNS1_3gpuE3ELNS1_3repE0EEENS1_30default_config_static_selectorELNS0_4arch9wavefront6targetE0EEEvT1_
    .private_segment_fixed_size: 0
    .sgpr_count:     14
    .sgpr_spill_count: 0
    .symbol:         _ZN7rocprim17ROCPRIM_400000_NS6detail17trampoline_kernelINS0_14default_configENS1_20scan_config_selectorIiEEZZNS1_9scan_implILNS1_25lookback_scan_determinismE0ELb0ELb0ES3_N6thrust23THRUST_200600_302600_NS6detail15normal_iteratorINS9_10device_ptrIiEEEESE_iNS9_4plusIvEEiEEDaPvRmT3_T4_T5_mT6_P12ihipStream_tbENKUlT_T0_E_clISt17integral_constantIbLb1EEST_IbLb0EEEEDaSP_SQ_EUlSP_E0_NS1_11comp_targetILNS1_3genE9ELNS1_11target_archE1100ELNS1_3gpuE3ELNS1_3repE0EEENS1_30default_config_static_selectorELNS0_4arch9wavefront6targetE0EEEvT1_.kd
    .uniform_work_group_size: 1
    .uses_dynamic_stack: false
    .vgpr_count:     23
    .vgpr_spill_count: 0
    .wavefront_size: 32
    .workgroup_processor_mode: 1
  - .args:
      - .offset:         0
        .size:           32
        .value_kind:     by_value
    .group_segment_fixed_size: 0
    .kernarg_segment_align: 8
    .kernarg_segment_size: 32
    .language:       OpenCL C
    .language_version:
      - 2
      - 0
    .max_flat_workgroup_size: 64
    .name:           _ZN7rocprim17ROCPRIM_400000_NS6detail17trampoline_kernelINS0_14default_configENS1_20scan_config_selectorIiEEZZNS1_9scan_implILNS1_25lookback_scan_determinismE0ELb0ELb0ES3_N6thrust23THRUST_200600_302600_NS6detail15normal_iteratorINS9_10device_ptrIiEEEESE_iNS9_4plusIvEEiEEDaPvRmT3_T4_T5_mT6_P12ihipStream_tbENKUlT_T0_E_clISt17integral_constantIbLb1EEST_IbLb0EEEEDaSP_SQ_EUlSP_E0_NS1_11comp_targetILNS1_3genE8ELNS1_11target_archE1030ELNS1_3gpuE2ELNS1_3repE0EEENS1_30default_config_static_selectorELNS0_4arch9wavefront6targetE0EEEvT1_
    .private_segment_fixed_size: 0
    .sgpr_count:     0
    .sgpr_spill_count: 0
    .symbol:         _ZN7rocprim17ROCPRIM_400000_NS6detail17trampoline_kernelINS0_14default_configENS1_20scan_config_selectorIiEEZZNS1_9scan_implILNS1_25lookback_scan_determinismE0ELb0ELb0ES3_N6thrust23THRUST_200600_302600_NS6detail15normal_iteratorINS9_10device_ptrIiEEEESE_iNS9_4plusIvEEiEEDaPvRmT3_T4_T5_mT6_P12ihipStream_tbENKUlT_T0_E_clISt17integral_constantIbLb1EEST_IbLb0EEEEDaSP_SQ_EUlSP_E0_NS1_11comp_targetILNS1_3genE8ELNS1_11target_archE1030ELNS1_3gpuE2ELNS1_3repE0EEENS1_30default_config_static_selectorELNS0_4arch9wavefront6targetE0EEEvT1_.kd
    .uniform_work_group_size: 1
    .uses_dynamic_stack: false
    .vgpr_count:     0
    .vgpr_spill_count: 0
    .wavefront_size: 32
    .workgroup_processor_mode: 1
  - .args:
      - .address_space:  global
        .offset:         0
        .size:           8
        .value_kind:     global_buffer
      - .offset:         8
        .size:           4
        .value_kind:     by_value
      - .address_space:  global
        .offset:         16
        .size:           8
        .value_kind:     global_buffer
      - .offset:         24
        .size:           4
        .value_kind:     by_value
      - .address_space:  global
        .offset:         32
        .size:           8
        .value_kind:     global_buffer
      - .offset:         40
        .size:           4
        .value_kind:     hidden_block_count_x
      - .offset:         44
        .size:           4
        .value_kind:     hidden_block_count_y
      - .offset:         48
        .size:           4
        .value_kind:     hidden_block_count_z
      - .offset:         52
        .size:           2
        .value_kind:     hidden_group_size_x
      - .offset:         54
        .size:           2
        .value_kind:     hidden_group_size_y
      - .offset:         56
        .size:           2
        .value_kind:     hidden_group_size_z
      - .offset:         58
        .size:           2
        .value_kind:     hidden_remainder_x
      - .offset:         60
        .size:           2
        .value_kind:     hidden_remainder_y
      - .offset:         62
        .size:           2
        .value_kind:     hidden_remainder_z
      - .offset:         80
        .size:           8
        .value_kind:     hidden_global_offset_x
      - .offset:         88
        .size:           8
        .value_kind:     hidden_global_offset_y
      - .offset:         96
        .size:           8
        .value_kind:     hidden_global_offset_z
      - .offset:         104
        .size:           2
        .value_kind:     hidden_grid_dims
    .group_segment_fixed_size: 0
    .kernarg_segment_align: 8
    .kernarg_segment_size: 296
    .language:       OpenCL C
    .language_version:
      - 2
      - 0
    .max_flat_workgroup_size: 256
    .name:           _ZN7rocprim17ROCPRIM_400000_NS6detail31init_lookback_scan_state_kernelINS1_19lookback_scan_stateIiLb0ELb1EEENS1_16block_id_wrapperIjLb1EEEEEvT_jT0_jPNS7_10value_typeE
    .private_segment_fixed_size: 0
    .sgpr_count:     18
    .sgpr_spill_count: 0
    .symbol:         _ZN7rocprim17ROCPRIM_400000_NS6detail31init_lookback_scan_state_kernelINS1_19lookback_scan_stateIiLb0ELb1EEENS1_16block_id_wrapperIjLb1EEEEEvT_jT0_jPNS7_10value_typeE.kd
    .uniform_work_group_size: 1
    .uses_dynamic_stack: false
    .vgpr_count:     6
    .vgpr_spill_count: 0
    .wavefront_size: 32
    .workgroup_processor_mode: 1
  - .args:
      - .offset:         0
        .size:           96
        .value_kind:     by_value
    .group_segment_fixed_size: 0
    .kernarg_segment_align: 8
    .kernarg_segment_size: 96
    .language:       OpenCL C
    .language_version:
      - 2
      - 0
    .max_flat_workgroup_size: 256
    .name:           _ZN7rocprim17ROCPRIM_400000_NS6detail17trampoline_kernelINS0_14default_configENS1_20scan_config_selectorIiEEZZNS1_9scan_implILNS1_25lookback_scan_determinismE0ELb0ELb0ES3_N6thrust23THRUST_200600_302600_NS6detail15normal_iteratorINS9_10device_ptrIiEEEESE_iNS9_4plusIvEEiEEDaPvRmT3_T4_T5_mT6_P12ihipStream_tbENKUlT_T0_E_clISt17integral_constantIbLb0EEST_IbLb1EEEEDaSP_SQ_EUlSP_E_NS1_11comp_targetILNS1_3genE0ELNS1_11target_archE4294967295ELNS1_3gpuE0ELNS1_3repE0EEENS1_30default_config_static_selectorELNS0_4arch9wavefront6targetE0EEEvT1_
    .private_segment_fixed_size: 0
    .sgpr_count:     0
    .sgpr_spill_count: 0
    .symbol:         _ZN7rocprim17ROCPRIM_400000_NS6detail17trampoline_kernelINS0_14default_configENS1_20scan_config_selectorIiEEZZNS1_9scan_implILNS1_25lookback_scan_determinismE0ELb0ELb0ES3_N6thrust23THRUST_200600_302600_NS6detail15normal_iteratorINS9_10device_ptrIiEEEESE_iNS9_4plusIvEEiEEDaPvRmT3_T4_T5_mT6_P12ihipStream_tbENKUlT_T0_E_clISt17integral_constantIbLb0EEST_IbLb1EEEEDaSP_SQ_EUlSP_E_NS1_11comp_targetILNS1_3genE0ELNS1_11target_archE4294967295ELNS1_3gpuE0ELNS1_3repE0EEENS1_30default_config_static_selectorELNS0_4arch9wavefront6targetE0EEEvT1_.kd
    .uniform_work_group_size: 1
    .uses_dynamic_stack: false
    .vgpr_count:     0
    .vgpr_spill_count: 0
    .wavefront_size: 32
    .workgroup_processor_mode: 1
  - .args:
      - .offset:         0
        .size:           96
        .value_kind:     by_value
    .group_segment_fixed_size: 0
    .kernarg_segment_align: 8
    .kernarg_segment_size: 96
    .language:       OpenCL C
    .language_version:
      - 2
      - 0
    .max_flat_workgroup_size: 256
    .name:           _ZN7rocprim17ROCPRIM_400000_NS6detail17trampoline_kernelINS0_14default_configENS1_20scan_config_selectorIiEEZZNS1_9scan_implILNS1_25lookback_scan_determinismE0ELb0ELb0ES3_N6thrust23THRUST_200600_302600_NS6detail15normal_iteratorINS9_10device_ptrIiEEEESE_iNS9_4plusIvEEiEEDaPvRmT3_T4_T5_mT6_P12ihipStream_tbENKUlT_T0_E_clISt17integral_constantIbLb0EEST_IbLb1EEEEDaSP_SQ_EUlSP_E_NS1_11comp_targetILNS1_3genE5ELNS1_11target_archE942ELNS1_3gpuE9ELNS1_3repE0EEENS1_30default_config_static_selectorELNS0_4arch9wavefront6targetE0EEEvT1_
    .private_segment_fixed_size: 0
    .sgpr_count:     0
    .sgpr_spill_count: 0
    .symbol:         _ZN7rocprim17ROCPRIM_400000_NS6detail17trampoline_kernelINS0_14default_configENS1_20scan_config_selectorIiEEZZNS1_9scan_implILNS1_25lookback_scan_determinismE0ELb0ELb0ES3_N6thrust23THRUST_200600_302600_NS6detail15normal_iteratorINS9_10device_ptrIiEEEESE_iNS9_4plusIvEEiEEDaPvRmT3_T4_T5_mT6_P12ihipStream_tbENKUlT_T0_E_clISt17integral_constantIbLb0EEST_IbLb1EEEEDaSP_SQ_EUlSP_E_NS1_11comp_targetILNS1_3genE5ELNS1_11target_archE942ELNS1_3gpuE9ELNS1_3repE0EEENS1_30default_config_static_selectorELNS0_4arch9wavefront6targetE0EEEvT1_.kd
    .uniform_work_group_size: 1
    .uses_dynamic_stack: false
    .vgpr_count:     0
    .vgpr_spill_count: 0
    .wavefront_size: 32
    .workgroup_processor_mode: 1
  - .args:
      - .offset:         0
        .size:           96
        .value_kind:     by_value
    .group_segment_fixed_size: 0
    .kernarg_segment_align: 8
    .kernarg_segment_size: 96
    .language:       OpenCL C
    .language_version:
      - 2
      - 0
    .max_flat_workgroup_size: 128
    .name:           _ZN7rocprim17ROCPRIM_400000_NS6detail17trampoline_kernelINS0_14default_configENS1_20scan_config_selectorIiEEZZNS1_9scan_implILNS1_25lookback_scan_determinismE0ELb0ELb0ES3_N6thrust23THRUST_200600_302600_NS6detail15normal_iteratorINS9_10device_ptrIiEEEESE_iNS9_4plusIvEEiEEDaPvRmT3_T4_T5_mT6_P12ihipStream_tbENKUlT_T0_E_clISt17integral_constantIbLb0EEST_IbLb1EEEEDaSP_SQ_EUlSP_E_NS1_11comp_targetILNS1_3genE4ELNS1_11target_archE910ELNS1_3gpuE8ELNS1_3repE0EEENS1_30default_config_static_selectorELNS0_4arch9wavefront6targetE0EEEvT1_
    .private_segment_fixed_size: 0
    .sgpr_count:     0
    .sgpr_spill_count: 0
    .symbol:         _ZN7rocprim17ROCPRIM_400000_NS6detail17trampoline_kernelINS0_14default_configENS1_20scan_config_selectorIiEEZZNS1_9scan_implILNS1_25lookback_scan_determinismE0ELb0ELb0ES3_N6thrust23THRUST_200600_302600_NS6detail15normal_iteratorINS9_10device_ptrIiEEEESE_iNS9_4plusIvEEiEEDaPvRmT3_T4_T5_mT6_P12ihipStream_tbENKUlT_T0_E_clISt17integral_constantIbLb0EEST_IbLb1EEEEDaSP_SQ_EUlSP_E_NS1_11comp_targetILNS1_3genE4ELNS1_11target_archE910ELNS1_3gpuE8ELNS1_3repE0EEENS1_30default_config_static_selectorELNS0_4arch9wavefront6targetE0EEEvT1_.kd
    .uniform_work_group_size: 1
    .uses_dynamic_stack: false
    .vgpr_count:     0
    .vgpr_spill_count: 0
    .wavefront_size: 32
    .workgroup_processor_mode: 1
  - .args:
      - .offset:         0
        .size:           96
        .value_kind:     by_value
    .group_segment_fixed_size: 0
    .kernarg_segment_align: 8
    .kernarg_segment_size: 96
    .language:       OpenCL C
    .language_version:
      - 2
      - 0
    .max_flat_workgroup_size: 256
    .name:           _ZN7rocprim17ROCPRIM_400000_NS6detail17trampoline_kernelINS0_14default_configENS1_20scan_config_selectorIiEEZZNS1_9scan_implILNS1_25lookback_scan_determinismE0ELb0ELb0ES3_N6thrust23THRUST_200600_302600_NS6detail15normal_iteratorINS9_10device_ptrIiEEEESE_iNS9_4plusIvEEiEEDaPvRmT3_T4_T5_mT6_P12ihipStream_tbENKUlT_T0_E_clISt17integral_constantIbLb0EEST_IbLb1EEEEDaSP_SQ_EUlSP_E_NS1_11comp_targetILNS1_3genE3ELNS1_11target_archE908ELNS1_3gpuE7ELNS1_3repE0EEENS1_30default_config_static_selectorELNS0_4arch9wavefront6targetE0EEEvT1_
    .private_segment_fixed_size: 0
    .sgpr_count:     0
    .sgpr_spill_count: 0
    .symbol:         _ZN7rocprim17ROCPRIM_400000_NS6detail17trampoline_kernelINS0_14default_configENS1_20scan_config_selectorIiEEZZNS1_9scan_implILNS1_25lookback_scan_determinismE0ELb0ELb0ES3_N6thrust23THRUST_200600_302600_NS6detail15normal_iteratorINS9_10device_ptrIiEEEESE_iNS9_4plusIvEEiEEDaPvRmT3_T4_T5_mT6_P12ihipStream_tbENKUlT_T0_E_clISt17integral_constantIbLb0EEST_IbLb1EEEEDaSP_SQ_EUlSP_E_NS1_11comp_targetILNS1_3genE3ELNS1_11target_archE908ELNS1_3gpuE7ELNS1_3repE0EEENS1_30default_config_static_selectorELNS0_4arch9wavefront6targetE0EEEvT1_.kd
    .uniform_work_group_size: 1
    .uses_dynamic_stack: false
    .vgpr_count:     0
    .vgpr_spill_count: 0
    .wavefront_size: 32
    .workgroup_processor_mode: 1
  - .args:
      - .offset:         0
        .size:           96
        .value_kind:     by_value
    .group_segment_fixed_size: 0
    .kernarg_segment_align: 8
    .kernarg_segment_size: 96
    .language:       OpenCL C
    .language_version:
      - 2
      - 0
    .max_flat_workgroup_size: 256
    .name:           _ZN7rocprim17ROCPRIM_400000_NS6detail17trampoline_kernelINS0_14default_configENS1_20scan_config_selectorIiEEZZNS1_9scan_implILNS1_25lookback_scan_determinismE0ELb0ELb0ES3_N6thrust23THRUST_200600_302600_NS6detail15normal_iteratorINS9_10device_ptrIiEEEESE_iNS9_4plusIvEEiEEDaPvRmT3_T4_T5_mT6_P12ihipStream_tbENKUlT_T0_E_clISt17integral_constantIbLb0EEST_IbLb1EEEEDaSP_SQ_EUlSP_E_NS1_11comp_targetILNS1_3genE2ELNS1_11target_archE906ELNS1_3gpuE6ELNS1_3repE0EEENS1_30default_config_static_selectorELNS0_4arch9wavefront6targetE0EEEvT1_
    .private_segment_fixed_size: 0
    .sgpr_count:     0
    .sgpr_spill_count: 0
    .symbol:         _ZN7rocprim17ROCPRIM_400000_NS6detail17trampoline_kernelINS0_14default_configENS1_20scan_config_selectorIiEEZZNS1_9scan_implILNS1_25lookback_scan_determinismE0ELb0ELb0ES3_N6thrust23THRUST_200600_302600_NS6detail15normal_iteratorINS9_10device_ptrIiEEEESE_iNS9_4plusIvEEiEEDaPvRmT3_T4_T5_mT6_P12ihipStream_tbENKUlT_T0_E_clISt17integral_constantIbLb0EEST_IbLb1EEEEDaSP_SQ_EUlSP_E_NS1_11comp_targetILNS1_3genE2ELNS1_11target_archE906ELNS1_3gpuE6ELNS1_3repE0EEENS1_30default_config_static_selectorELNS0_4arch9wavefront6targetE0EEEvT1_.kd
    .uniform_work_group_size: 1
    .uses_dynamic_stack: false
    .vgpr_count:     0
    .vgpr_spill_count: 0
    .wavefront_size: 32
    .workgroup_processor_mode: 1
  - .args:
      - .offset:         0
        .size:           96
        .value_kind:     by_value
    .group_segment_fixed_size: 0
    .kernarg_segment_align: 8
    .kernarg_segment_size: 96
    .language:       OpenCL C
    .language_version:
      - 2
      - 0
    .max_flat_workgroup_size: 256
    .name:           _ZN7rocprim17ROCPRIM_400000_NS6detail17trampoline_kernelINS0_14default_configENS1_20scan_config_selectorIiEEZZNS1_9scan_implILNS1_25lookback_scan_determinismE0ELb0ELb0ES3_N6thrust23THRUST_200600_302600_NS6detail15normal_iteratorINS9_10device_ptrIiEEEESE_iNS9_4plusIvEEiEEDaPvRmT3_T4_T5_mT6_P12ihipStream_tbENKUlT_T0_E_clISt17integral_constantIbLb0EEST_IbLb1EEEEDaSP_SQ_EUlSP_E_NS1_11comp_targetILNS1_3genE10ELNS1_11target_archE1201ELNS1_3gpuE5ELNS1_3repE0EEENS1_30default_config_static_selectorELNS0_4arch9wavefront6targetE0EEEvT1_
    .private_segment_fixed_size: 0
    .sgpr_count:     0
    .sgpr_spill_count: 0
    .symbol:         _ZN7rocprim17ROCPRIM_400000_NS6detail17trampoline_kernelINS0_14default_configENS1_20scan_config_selectorIiEEZZNS1_9scan_implILNS1_25lookback_scan_determinismE0ELb0ELb0ES3_N6thrust23THRUST_200600_302600_NS6detail15normal_iteratorINS9_10device_ptrIiEEEESE_iNS9_4plusIvEEiEEDaPvRmT3_T4_T5_mT6_P12ihipStream_tbENKUlT_T0_E_clISt17integral_constantIbLb0EEST_IbLb1EEEEDaSP_SQ_EUlSP_E_NS1_11comp_targetILNS1_3genE10ELNS1_11target_archE1201ELNS1_3gpuE5ELNS1_3repE0EEENS1_30default_config_static_selectorELNS0_4arch9wavefront6targetE0EEEvT1_.kd
    .uniform_work_group_size: 1
    .uses_dynamic_stack: false
    .vgpr_count:     0
    .vgpr_spill_count: 0
    .wavefront_size: 32
    .workgroup_processor_mode: 1
  - .args:
      - .offset:         0
        .size:           96
        .value_kind:     by_value
    .group_segment_fixed_size: 0
    .kernarg_segment_align: 8
    .kernarg_segment_size: 96
    .language:       OpenCL C
    .language_version:
      - 2
      - 0
    .max_flat_workgroup_size: 256
    .name:           _ZN7rocprim17ROCPRIM_400000_NS6detail17trampoline_kernelINS0_14default_configENS1_20scan_config_selectorIiEEZZNS1_9scan_implILNS1_25lookback_scan_determinismE0ELb0ELb0ES3_N6thrust23THRUST_200600_302600_NS6detail15normal_iteratorINS9_10device_ptrIiEEEESE_iNS9_4plusIvEEiEEDaPvRmT3_T4_T5_mT6_P12ihipStream_tbENKUlT_T0_E_clISt17integral_constantIbLb0EEST_IbLb1EEEEDaSP_SQ_EUlSP_E_NS1_11comp_targetILNS1_3genE10ELNS1_11target_archE1200ELNS1_3gpuE4ELNS1_3repE0EEENS1_30default_config_static_selectorELNS0_4arch9wavefront6targetE0EEEvT1_
    .private_segment_fixed_size: 0
    .sgpr_count:     0
    .sgpr_spill_count: 0
    .symbol:         _ZN7rocprim17ROCPRIM_400000_NS6detail17trampoline_kernelINS0_14default_configENS1_20scan_config_selectorIiEEZZNS1_9scan_implILNS1_25lookback_scan_determinismE0ELb0ELb0ES3_N6thrust23THRUST_200600_302600_NS6detail15normal_iteratorINS9_10device_ptrIiEEEESE_iNS9_4plusIvEEiEEDaPvRmT3_T4_T5_mT6_P12ihipStream_tbENKUlT_T0_E_clISt17integral_constantIbLb0EEST_IbLb1EEEEDaSP_SQ_EUlSP_E_NS1_11comp_targetILNS1_3genE10ELNS1_11target_archE1200ELNS1_3gpuE4ELNS1_3repE0EEENS1_30default_config_static_selectorELNS0_4arch9wavefront6targetE0EEEvT1_.kd
    .uniform_work_group_size: 1
    .uses_dynamic_stack: false
    .vgpr_count:     0
    .vgpr_spill_count: 0
    .wavefront_size: 32
    .workgroup_processor_mode: 1
  - .args:
      - .offset:         0
        .size:           96
        .value_kind:     by_value
    .group_segment_fixed_size: 4224
    .kernarg_segment_align: 8
    .kernarg_segment_size: 96
    .language:       OpenCL C
    .language_version:
      - 2
      - 0
    .max_flat_workgroup_size: 256
    .name:           _ZN7rocprim17ROCPRIM_400000_NS6detail17trampoline_kernelINS0_14default_configENS1_20scan_config_selectorIiEEZZNS1_9scan_implILNS1_25lookback_scan_determinismE0ELb0ELb0ES3_N6thrust23THRUST_200600_302600_NS6detail15normal_iteratorINS9_10device_ptrIiEEEESE_iNS9_4plusIvEEiEEDaPvRmT3_T4_T5_mT6_P12ihipStream_tbENKUlT_T0_E_clISt17integral_constantIbLb0EEST_IbLb1EEEEDaSP_SQ_EUlSP_E_NS1_11comp_targetILNS1_3genE9ELNS1_11target_archE1100ELNS1_3gpuE3ELNS1_3repE0EEENS1_30default_config_static_selectorELNS0_4arch9wavefront6targetE0EEEvT1_
    .private_segment_fixed_size: 0
    .sgpr_count:     30
    .sgpr_spill_count: 0
    .symbol:         _ZN7rocprim17ROCPRIM_400000_NS6detail17trampoline_kernelINS0_14default_configENS1_20scan_config_selectorIiEEZZNS1_9scan_implILNS1_25lookback_scan_determinismE0ELb0ELb0ES3_N6thrust23THRUST_200600_302600_NS6detail15normal_iteratorINS9_10device_ptrIiEEEESE_iNS9_4plusIvEEiEEDaPvRmT3_T4_T5_mT6_P12ihipStream_tbENKUlT_T0_E_clISt17integral_constantIbLb0EEST_IbLb1EEEEDaSP_SQ_EUlSP_E_NS1_11comp_targetILNS1_3genE9ELNS1_11target_archE1100ELNS1_3gpuE3ELNS1_3repE0EEENS1_30default_config_static_selectorELNS0_4arch9wavefront6targetE0EEEvT1_.kd
    .uniform_work_group_size: 1
    .uses_dynamic_stack: false
    .vgpr_count:     32
    .vgpr_spill_count: 0
    .wavefront_size: 32
    .workgroup_processor_mode: 1
  - .args:
      - .offset:         0
        .size:           96
        .value_kind:     by_value
    .group_segment_fixed_size: 0
    .kernarg_segment_align: 8
    .kernarg_segment_size: 96
    .language:       OpenCL C
    .language_version:
      - 2
      - 0
    .max_flat_workgroup_size: 64
    .name:           _ZN7rocprim17ROCPRIM_400000_NS6detail17trampoline_kernelINS0_14default_configENS1_20scan_config_selectorIiEEZZNS1_9scan_implILNS1_25lookback_scan_determinismE0ELb0ELb0ES3_N6thrust23THRUST_200600_302600_NS6detail15normal_iteratorINS9_10device_ptrIiEEEESE_iNS9_4plusIvEEiEEDaPvRmT3_T4_T5_mT6_P12ihipStream_tbENKUlT_T0_E_clISt17integral_constantIbLb0EEST_IbLb1EEEEDaSP_SQ_EUlSP_E_NS1_11comp_targetILNS1_3genE8ELNS1_11target_archE1030ELNS1_3gpuE2ELNS1_3repE0EEENS1_30default_config_static_selectorELNS0_4arch9wavefront6targetE0EEEvT1_
    .private_segment_fixed_size: 0
    .sgpr_count:     0
    .sgpr_spill_count: 0
    .symbol:         _ZN7rocprim17ROCPRIM_400000_NS6detail17trampoline_kernelINS0_14default_configENS1_20scan_config_selectorIiEEZZNS1_9scan_implILNS1_25lookback_scan_determinismE0ELb0ELb0ES3_N6thrust23THRUST_200600_302600_NS6detail15normal_iteratorINS9_10device_ptrIiEEEESE_iNS9_4plusIvEEiEEDaPvRmT3_T4_T5_mT6_P12ihipStream_tbENKUlT_T0_E_clISt17integral_constantIbLb0EEST_IbLb1EEEEDaSP_SQ_EUlSP_E_NS1_11comp_targetILNS1_3genE8ELNS1_11target_archE1030ELNS1_3gpuE2ELNS1_3repE0EEENS1_30default_config_static_selectorELNS0_4arch9wavefront6targetE0EEEvT1_.kd
    .uniform_work_group_size: 1
    .uses_dynamic_stack: false
    .vgpr_count:     0
    .vgpr_spill_count: 0
    .wavefront_size: 32
    .workgroup_processor_mode: 1
  - .args:
      - .offset:         0
        .size:           32
        .value_kind:     by_value
    .group_segment_fixed_size: 0
    .kernarg_segment_align: 8
    .kernarg_segment_size: 32
    .language:       OpenCL C
    .language_version:
      - 2
      - 0
    .max_flat_workgroup_size: 256
    .name:           _ZN7rocprim17ROCPRIM_400000_NS6detail17trampoline_kernelINS0_14default_configENS1_20scan_config_selectorIiEEZZNS1_9scan_implILNS1_25lookback_scan_determinismE0ELb0ELb0ES3_N6thrust23THRUST_200600_302600_NS6detail15normal_iteratorINS9_10device_ptrIiEEEESE_iNS9_4plusIvEEiEEDaPvRmT3_T4_T5_mT6_P12ihipStream_tbENKUlT_T0_E_clISt17integral_constantIbLb0EEST_IbLb1EEEEDaSP_SQ_EUlSP_E0_NS1_11comp_targetILNS1_3genE0ELNS1_11target_archE4294967295ELNS1_3gpuE0ELNS1_3repE0EEENS1_30default_config_static_selectorELNS0_4arch9wavefront6targetE0EEEvT1_
    .private_segment_fixed_size: 0
    .sgpr_count:     0
    .sgpr_spill_count: 0
    .symbol:         _ZN7rocprim17ROCPRIM_400000_NS6detail17trampoline_kernelINS0_14default_configENS1_20scan_config_selectorIiEEZZNS1_9scan_implILNS1_25lookback_scan_determinismE0ELb0ELb0ES3_N6thrust23THRUST_200600_302600_NS6detail15normal_iteratorINS9_10device_ptrIiEEEESE_iNS9_4plusIvEEiEEDaPvRmT3_T4_T5_mT6_P12ihipStream_tbENKUlT_T0_E_clISt17integral_constantIbLb0EEST_IbLb1EEEEDaSP_SQ_EUlSP_E0_NS1_11comp_targetILNS1_3genE0ELNS1_11target_archE4294967295ELNS1_3gpuE0ELNS1_3repE0EEENS1_30default_config_static_selectorELNS0_4arch9wavefront6targetE0EEEvT1_.kd
    .uniform_work_group_size: 1
    .uses_dynamic_stack: false
    .vgpr_count:     0
    .vgpr_spill_count: 0
    .wavefront_size: 32
    .workgroup_processor_mode: 1
  - .args:
      - .offset:         0
        .size:           32
        .value_kind:     by_value
    .group_segment_fixed_size: 0
    .kernarg_segment_align: 8
    .kernarg_segment_size: 32
    .language:       OpenCL C
    .language_version:
      - 2
      - 0
    .max_flat_workgroup_size: 256
    .name:           _ZN7rocprim17ROCPRIM_400000_NS6detail17trampoline_kernelINS0_14default_configENS1_20scan_config_selectorIiEEZZNS1_9scan_implILNS1_25lookback_scan_determinismE0ELb0ELb0ES3_N6thrust23THRUST_200600_302600_NS6detail15normal_iteratorINS9_10device_ptrIiEEEESE_iNS9_4plusIvEEiEEDaPvRmT3_T4_T5_mT6_P12ihipStream_tbENKUlT_T0_E_clISt17integral_constantIbLb0EEST_IbLb1EEEEDaSP_SQ_EUlSP_E0_NS1_11comp_targetILNS1_3genE5ELNS1_11target_archE942ELNS1_3gpuE9ELNS1_3repE0EEENS1_30default_config_static_selectorELNS0_4arch9wavefront6targetE0EEEvT1_
    .private_segment_fixed_size: 0
    .sgpr_count:     0
    .sgpr_spill_count: 0
    .symbol:         _ZN7rocprim17ROCPRIM_400000_NS6detail17trampoline_kernelINS0_14default_configENS1_20scan_config_selectorIiEEZZNS1_9scan_implILNS1_25lookback_scan_determinismE0ELb0ELb0ES3_N6thrust23THRUST_200600_302600_NS6detail15normal_iteratorINS9_10device_ptrIiEEEESE_iNS9_4plusIvEEiEEDaPvRmT3_T4_T5_mT6_P12ihipStream_tbENKUlT_T0_E_clISt17integral_constantIbLb0EEST_IbLb1EEEEDaSP_SQ_EUlSP_E0_NS1_11comp_targetILNS1_3genE5ELNS1_11target_archE942ELNS1_3gpuE9ELNS1_3repE0EEENS1_30default_config_static_selectorELNS0_4arch9wavefront6targetE0EEEvT1_.kd
    .uniform_work_group_size: 1
    .uses_dynamic_stack: false
    .vgpr_count:     0
    .vgpr_spill_count: 0
    .wavefront_size: 32
    .workgroup_processor_mode: 1
  - .args:
      - .offset:         0
        .size:           32
        .value_kind:     by_value
    .group_segment_fixed_size: 0
    .kernarg_segment_align: 8
    .kernarg_segment_size: 32
    .language:       OpenCL C
    .language_version:
      - 2
      - 0
    .max_flat_workgroup_size: 128
    .name:           _ZN7rocprim17ROCPRIM_400000_NS6detail17trampoline_kernelINS0_14default_configENS1_20scan_config_selectorIiEEZZNS1_9scan_implILNS1_25lookback_scan_determinismE0ELb0ELb0ES3_N6thrust23THRUST_200600_302600_NS6detail15normal_iteratorINS9_10device_ptrIiEEEESE_iNS9_4plusIvEEiEEDaPvRmT3_T4_T5_mT6_P12ihipStream_tbENKUlT_T0_E_clISt17integral_constantIbLb0EEST_IbLb1EEEEDaSP_SQ_EUlSP_E0_NS1_11comp_targetILNS1_3genE4ELNS1_11target_archE910ELNS1_3gpuE8ELNS1_3repE0EEENS1_30default_config_static_selectorELNS0_4arch9wavefront6targetE0EEEvT1_
    .private_segment_fixed_size: 0
    .sgpr_count:     0
    .sgpr_spill_count: 0
    .symbol:         _ZN7rocprim17ROCPRIM_400000_NS6detail17trampoline_kernelINS0_14default_configENS1_20scan_config_selectorIiEEZZNS1_9scan_implILNS1_25lookback_scan_determinismE0ELb0ELb0ES3_N6thrust23THRUST_200600_302600_NS6detail15normal_iteratorINS9_10device_ptrIiEEEESE_iNS9_4plusIvEEiEEDaPvRmT3_T4_T5_mT6_P12ihipStream_tbENKUlT_T0_E_clISt17integral_constantIbLb0EEST_IbLb1EEEEDaSP_SQ_EUlSP_E0_NS1_11comp_targetILNS1_3genE4ELNS1_11target_archE910ELNS1_3gpuE8ELNS1_3repE0EEENS1_30default_config_static_selectorELNS0_4arch9wavefront6targetE0EEEvT1_.kd
    .uniform_work_group_size: 1
    .uses_dynamic_stack: false
    .vgpr_count:     0
    .vgpr_spill_count: 0
    .wavefront_size: 32
    .workgroup_processor_mode: 1
  - .args:
      - .offset:         0
        .size:           32
        .value_kind:     by_value
    .group_segment_fixed_size: 0
    .kernarg_segment_align: 8
    .kernarg_segment_size: 32
    .language:       OpenCL C
    .language_version:
      - 2
      - 0
    .max_flat_workgroup_size: 256
    .name:           _ZN7rocprim17ROCPRIM_400000_NS6detail17trampoline_kernelINS0_14default_configENS1_20scan_config_selectorIiEEZZNS1_9scan_implILNS1_25lookback_scan_determinismE0ELb0ELb0ES3_N6thrust23THRUST_200600_302600_NS6detail15normal_iteratorINS9_10device_ptrIiEEEESE_iNS9_4plusIvEEiEEDaPvRmT3_T4_T5_mT6_P12ihipStream_tbENKUlT_T0_E_clISt17integral_constantIbLb0EEST_IbLb1EEEEDaSP_SQ_EUlSP_E0_NS1_11comp_targetILNS1_3genE3ELNS1_11target_archE908ELNS1_3gpuE7ELNS1_3repE0EEENS1_30default_config_static_selectorELNS0_4arch9wavefront6targetE0EEEvT1_
    .private_segment_fixed_size: 0
    .sgpr_count:     0
    .sgpr_spill_count: 0
    .symbol:         _ZN7rocprim17ROCPRIM_400000_NS6detail17trampoline_kernelINS0_14default_configENS1_20scan_config_selectorIiEEZZNS1_9scan_implILNS1_25lookback_scan_determinismE0ELb0ELb0ES3_N6thrust23THRUST_200600_302600_NS6detail15normal_iteratorINS9_10device_ptrIiEEEESE_iNS9_4plusIvEEiEEDaPvRmT3_T4_T5_mT6_P12ihipStream_tbENKUlT_T0_E_clISt17integral_constantIbLb0EEST_IbLb1EEEEDaSP_SQ_EUlSP_E0_NS1_11comp_targetILNS1_3genE3ELNS1_11target_archE908ELNS1_3gpuE7ELNS1_3repE0EEENS1_30default_config_static_selectorELNS0_4arch9wavefront6targetE0EEEvT1_.kd
    .uniform_work_group_size: 1
    .uses_dynamic_stack: false
    .vgpr_count:     0
    .vgpr_spill_count: 0
    .wavefront_size: 32
    .workgroup_processor_mode: 1
  - .args:
      - .offset:         0
        .size:           32
        .value_kind:     by_value
    .group_segment_fixed_size: 0
    .kernarg_segment_align: 8
    .kernarg_segment_size: 32
    .language:       OpenCL C
    .language_version:
      - 2
      - 0
    .max_flat_workgroup_size: 256
    .name:           _ZN7rocprim17ROCPRIM_400000_NS6detail17trampoline_kernelINS0_14default_configENS1_20scan_config_selectorIiEEZZNS1_9scan_implILNS1_25lookback_scan_determinismE0ELb0ELb0ES3_N6thrust23THRUST_200600_302600_NS6detail15normal_iteratorINS9_10device_ptrIiEEEESE_iNS9_4plusIvEEiEEDaPvRmT3_T4_T5_mT6_P12ihipStream_tbENKUlT_T0_E_clISt17integral_constantIbLb0EEST_IbLb1EEEEDaSP_SQ_EUlSP_E0_NS1_11comp_targetILNS1_3genE2ELNS1_11target_archE906ELNS1_3gpuE6ELNS1_3repE0EEENS1_30default_config_static_selectorELNS0_4arch9wavefront6targetE0EEEvT1_
    .private_segment_fixed_size: 0
    .sgpr_count:     0
    .sgpr_spill_count: 0
    .symbol:         _ZN7rocprim17ROCPRIM_400000_NS6detail17trampoline_kernelINS0_14default_configENS1_20scan_config_selectorIiEEZZNS1_9scan_implILNS1_25lookback_scan_determinismE0ELb0ELb0ES3_N6thrust23THRUST_200600_302600_NS6detail15normal_iteratorINS9_10device_ptrIiEEEESE_iNS9_4plusIvEEiEEDaPvRmT3_T4_T5_mT6_P12ihipStream_tbENKUlT_T0_E_clISt17integral_constantIbLb0EEST_IbLb1EEEEDaSP_SQ_EUlSP_E0_NS1_11comp_targetILNS1_3genE2ELNS1_11target_archE906ELNS1_3gpuE6ELNS1_3repE0EEENS1_30default_config_static_selectorELNS0_4arch9wavefront6targetE0EEEvT1_.kd
    .uniform_work_group_size: 1
    .uses_dynamic_stack: false
    .vgpr_count:     0
    .vgpr_spill_count: 0
    .wavefront_size: 32
    .workgroup_processor_mode: 1
  - .args:
      - .offset:         0
        .size:           32
        .value_kind:     by_value
    .group_segment_fixed_size: 0
    .kernarg_segment_align: 8
    .kernarg_segment_size: 32
    .language:       OpenCL C
    .language_version:
      - 2
      - 0
    .max_flat_workgroup_size: 256
    .name:           _ZN7rocprim17ROCPRIM_400000_NS6detail17trampoline_kernelINS0_14default_configENS1_20scan_config_selectorIiEEZZNS1_9scan_implILNS1_25lookback_scan_determinismE0ELb0ELb0ES3_N6thrust23THRUST_200600_302600_NS6detail15normal_iteratorINS9_10device_ptrIiEEEESE_iNS9_4plusIvEEiEEDaPvRmT3_T4_T5_mT6_P12ihipStream_tbENKUlT_T0_E_clISt17integral_constantIbLb0EEST_IbLb1EEEEDaSP_SQ_EUlSP_E0_NS1_11comp_targetILNS1_3genE10ELNS1_11target_archE1201ELNS1_3gpuE5ELNS1_3repE0EEENS1_30default_config_static_selectorELNS0_4arch9wavefront6targetE0EEEvT1_
    .private_segment_fixed_size: 0
    .sgpr_count:     0
    .sgpr_spill_count: 0
    .symbol:         _ZN7rocprim17ROCPRIM_400000_NS6detail17trampoline_kernelINS0_14default_configENS1_20scan_config_selectorIiEEZZNS1_9scan_implILNS1_25lookback_scan_determinismE0ELb0ELb0ES3_N6thrust23THRUST_200600_302600_NS6detail15normal_iteratorINS9_10device_ptrIiEEEESE_iNS9_4plusIvEEiEEDaPvRmT3_T4_T5_mT6_P12ihipStream_tbENKUlT_T0_E_clISt17integral_constantIbLb0EEST_IbLb1EEEEDaSP_SQ_EUlSP_E0_NS1_11comp_targetILNS1_3genE10ELNS1_11target_archE1201ELNS1_3gpuE5ELNS1_3repE0EEENS1_30default_config_static_selectorELNS0_4arch9wavefront6targetE0EEEvT1_.kd
    .uniform_work_group_size: 1
    .uses_dynamic_stack: false
    .vgpr_count:     0
    .vgpr_spill_count: 0
    .wavefront_size: 32
    .workgroup_processor_mode: 1
  - .args:
      - .offset:         0
        .size:           32
        .value_kind:     by_value
    .group_segment_fixed_size: 0
    .kernarg_segment_align: 8
    .kernarg_segment_size: 32
    .language:       OpenCL C
    .language_version:
      - 2
      - 0
    .max_flat_workgroup_size: 256
    .name:           _ZN7rocprim17ROCPRIM_400000_NS6detail17trampoline_kernelINS0_14default_configENS1_20scan_config_selectorIiEEZZNS1_9scan_implILNS1_25lookback_scan_determinismE0ELb0ELb0ES3_N6thrust23THRUST_200600_302600_NS6detail15normal_iteratorINS9_10device_ptrIiEEEESE_iNS9_4plusIvEEiEEDaPvRmT3_T4_T5_mT6_P12ihipStream_tbENKUlT_T0_E_clISt17integral_constantIbLb0EEST_IbLb1EEEEDaSP_SQ_EUlSP_E0_NS1_11comp_targetILNS1_3genE10ELNS1_11target_archE1200ELNS1_3gpuE4ELNS1_3repE0EEENS1_30default_config_static_selectorELNS0_4arch9wavefront6targetE0EEEvT1_
    .private_segment_fixed_size: 0
    .sgpr_count:     0
    .sgpr_spill_count: 0
    .symbol:         _ZN7rocprim17ROCPRIM_400000_NS6detail17trampoline_kernelINS0_14default_configENS1_20scan_config_selectorIiEEZZNS1_9scan_implILNS1_25lookback_scan_determinismE0ELb0ELb0ES3_N6thrust23THRUST_200600_302600_NS6detail15normal_iteratorINS9_10device_ptrIiEEEESE_iNS9_4plusIvEEiEEDaPvRmT3_T4_T5_mT6_P12ihipStream_tbENKUlT_T0_E_clISt17integral_constantIbLb0EEST_IbLb1EEEEDaSP_SQ_EUlSP_E0_NS1_11comp_targetILNS1_3genE10ELNS1_11target_archE1200ELNS1_3gpuE4ELNS1_3repE0EEENS1_30default_config_static_selectorELNS0_4arch9wavefront6targetE0EEEvT1_.kd
    .uniform_work_group_size: 1
    .uses_dynamic_stack: false
    .vgpr_count:     0
    .vgpr_spill_count: 0
    .wavefront_size: 32
    .workgroup_processor_mode: 1
  - .args:
      - .offset:         0
        .size:           32
        .value_kind:     by_value
    .group_segment_fixed_size: 4224
    .kernarg_segment_align: 8
    .kernarg_segment_size: 32
    .language:       OpenCL C
    .language_version:
      - 2
      - 0
    .max_flat_workgroup_size: 256
    .name:           _ZN7rocprim17ROCPRIM_400000_NS6detail17trampoline_kernelINS0_14default_configENS1_20scan_config_selectorIiEEZZNS1_9scan_implILNS1_25lookback_scan_determinismE0ELb0ELb0ES3_N6thrust23THRUST_200600_302600_NS6detail15normal_iteratorINS9_10device_ptrIiEEEESE_iNS9_4plusIvEEiEEDaPvRmT3_T4_T5_mT6_P12ihipStream_tbENKUlT_T0_E_clISt17integral_constantIbLb0EEST_IbLb1EEEEDaSP_SQ_EUlSP_E0_NS1_11comp_targetILNS1_3genE9ELNS1_11target_archE1100ELNS1_3gpuE3ELNS1_3repE0EEENS1_30default_config_static_selectorELNS0_4arch9wavefront6targetE0EEEvT1_
    .private_segment_fixed_size: 0
    .sgpr_count:     14
    .sgpr_spill_count: 0
    .symbol:         _ZN7rocprim17ROCPRIM_400000_NS6detail17trampoline_kernelINS0_14default_configENS1_20scan_config_selectorIiEEZZNS1_9scan_implILNS1_25lookback_scan_determinismE0ELb0ELb0ES3_N6thrust23THRUST_200600_302600_NS6detail15normal_iteratorINS9_10device_ptrIiEEEESE_iNS9_4plusIvEEiEEDaPvRmT3_T4_T5_mT6_P12ihipStream_tbENKUlT_T0_E_clISt17integral_constantIbLb0EEST_IbLb1EEEEDaSP_SQ_EUlSP_E0_NS1_11comp_targetILNS1_3genE9ELNS1_11target_archE1100ELNS1_3gpuE3ELNS1_3repE0EEENS1_30default_config_static_selectorELNS0_4arch9wavefront6targetE0EEEvT1_.kd
    .uniform_work_group_size: 1
    .uses_dynamic_stack: false
    .vgpr_count:     23
    .vgpr_spill_count: 0
    .wavefront_size: 32
    .workgroup_processor_mode: 1
  - .args:
      - .offset:         0
        .size:           32
        .value_kind:     by_value
    .group_segment_fixed_size: 0
    .kernarg_segment_align: 8
    .kernarg_segment_size: 32
    .language:       OpenCL C
    .language_version:
      - 2
      - 0
    .max_flat_workgroup_size: 64
    .name:           _ZN7rocprim17ROCPRIM_400000_NS6detail17trampoline_kernelINS0_14default_configENS1_20scan_config_selectorIiEEZZNS1_9scan_implILNS1_25lookback_scan_determinismE0ELb0ELb0ES3_N6thrust23THRUST_200600_302600_NS6detail15normal_iteratorINS9_10device_ptrIiEEEESE_iNS9_4plusIvEEiEEDaPvRmT3_T4_T5_mT6_P12ihipStream_tbENKUlT_T0_E_clISt17integral_constantIbLb0EEST_IbLb1EEEEDaSP_SQ_EUlSP_E0_NS1_11comp_targetILNS1_3genE8ELNS1_11target_archE1030ELNS1_3gpuE2ELNS1_3repE0EEENS1_30default_config_static_selectorELNS0_4arch9wavefront6targetE0EEEvT1_
    .private_segment_fixed_size: 0
    .sgpr_count:     0
    .sgpr_spill_count: 0
    .symbol:         _ZN7rocprim17ROCPRIM_400000_NS6detail17trampoline_kernelINS0_14default_configENS1_20scan_config_selectorIiEEZZNS1_9scan_implILNS1_25lookback_scan_determinismE0ELb0ELb0ES3_N6thrust23THRUST_200600_302600_NS6detail15normal_iteratorINS9_10device_ptrIiEEEESE_iNS9_4plusIvEEiEEDaPvRmT3_T4_T5_mT6_P12ihipStream_tbENKUlT_T0_E_clISt17integral_constantIbLb0EEST_IbLb1EEEEDaSP_SQ_EUlSP_E0_NS1_11comp_targetILNS1_3genE8ELNS1_11target_archE1030ELNS1_3gpuE2ELNS1_3repE0EEENS1_30default_config_static_selectorELNS0_4arch9wavefront6targetE0EEEvT1_.kd
    .uniform_work_group_size: 1
    .uses_dynamic_stack: false
    .vgpr_count:     0
    .vgpr_spill_count: 0
    .wavefront_size: 32
    .workgroup_processor_mode: 1
  - .args:
      - .offset:         0
        .size:           56
        .value_kind:     by_value
    .group_segment_fixed_size: 0
    .kernarg_segment_align: 8
    .kernarg_segment_size: 56
    .language:       OpenCL C
    .language_version:
      - 2
      - 0
    .max_flat_workgroup_size: 64
    .name:           _ZN7rocprim17ROCPRIM_400000_NS6detail17trampoline_kernelINS0_14default_configENS1_27lower_bound_config_selectorIiiEEZNS1_14transform_implILb0ES3_S5_N6thrust23THRUST_200600_302600_NS17counting_iteratorIiNS8_11use_defaultESA_SA_EENS8_6detail15normal_iteratorINS8_10device_ptrIiEEEEZNS1_13binary_searchIS3_S5_SG_SB_SG_NS1_21lower_bound_search_opENSC_16wrapped_functionINS0_4lessIvEEbEEEE10hipError_tPvRmT1_T2_T3_mmT4_T5_P12ihipStream_tbEUlRKiE_EESN_SR_SS_mST_SW_bEUlT_E_NS1_11comp_targetILNS1_3genE0ELNS1_11target_archE4294967295ELNS1_3gpuE0ELNS1_3repE0EEENS1_30default_config_static_selectorELNS0_4arch9wavefront6targetE0EEEvSQ_
    .private_segment_fixed_size: 0
    .sgpr_count:     0
    .sgpr_spill_count: 0
    .symbol:         _ZN7rocprim17ROCPRIM_400000_NS6detail17trampoline_kernelINS0_14default_configENS1_27lower_bound_config_selectorIiiEEZNS1_14transform_implILb0ES3_S5_N6thrust23THRUST_200600_302600_NS17counting_iteratorIiNS8_11use_defaultESA_SA_EENS8_6detail15normal_iteratorINS8_10device_ptrIiEEEEZNS1_13binary_searchIS3_S5_SG_SB_SG_NS1_21lower_bound_search_opENSC_16wrapped_functionINS0_4lessIvEEbEEEE10hipError_tPvRmT1_T2_T3_mmT4_T5_P12ihipStream_tbEUlRKiE_EESN_SR_SS_mST_SW_bEUlT_E_NS1_11comp_targetILNS1_3genE0ELNS1_11target_archE4294967295ELNS1_3gpuE0ELNS1_3repE0EEENS1_30default_config_static_selectorELNS0_4arch9wavefront6targetE0EEEvSQ_.kd
    .uniform_work_group_size: 1
    .uses_dynamic_stack: false
    .vgpr_count:     0
    .vgpr_spill_count: 0
    .wavefront_size: 32
    .workgroup_processor_mode: 1
  - .args:
      - .offset:         0
        .size:           56
        .value_kind:     by_value
    .group_segment_fixed_size: 0
    .kernarg_segment_align: 8
    .kernarg_segment_size: 56
    .language:       OpenCL C
    .language_version:
      - 2
      - 0
    .max_flat_workgroup_size: 256
    .name:           _ZN7rocprim17ROCPRIM_400000_NS6detail17trampoline_kernelINS0_14default_configENS1_27lower_bound_config_selectorIiiEEZNS1_14transform_implILb0ES3_S5_N6thrust23THRUST_200600_302600_NS17counting_iteratorIiNS8_11use_defaultESA_SA_EENS8_6detail15normal_iteratorINS8_10device_ptrIiEEEEZNS1_13binary_searchIS3_S5_SG_SB_SG_NS1_21lower_bound_search_opENSC_16wrapped_functionINS0_4lessIvEEbEEEE10hipError_tPvRmT1_T2_T3_mmT4_T5_P12ihipStream_tbEUlRKiE_EESN_SR_SS_mST_SW_bEUlT_E_NS1_11comp_targetILNS1_3genE5ELNS1_11target_archE942ELNS1_3gpuE9ELNS1_3repE0EEENS1_30default_config_static_selectorELNS0_4arch9wavefront6targetE0EEEvSQ_
    .private_segment_fixed_size: 0
    .sgpr_count:     0
    .sgpr_spill_count: 0
    .symbol:         _ZN7rocprim17ROCPRIM_400000_NS6detail17trampoline_kernelINS0_14default_configENS1_27lower_bound_config_selectorIiiEEZNS1_14transform_implILb0ES3_S5_N6thrust23THRUST_200600_302600_NS17counting_iteratorIiNS8_11use_defaultESA_SA_EENS8_6detail15normal_iteratorINS8_10device_ptrIiEEEEZNS1_13binary_searchIS3_S5_SG_SB_SG_NS1_21lower_bound_search_opENSC_16wrapped_functionINS0_4lessIvEEbEEEE10hipError_tPvRmT1_T2_T3_mmT4_T5_P12ihipStream_tbEUlRKiE_EESN_SR_SS_mST_SW_bEUlT_E_NS1_11comp_targetILNS1_3genE5ELNS1_11target_archE942ELNS1_3gpuE9ELNS1_3repE0EEENS1_30default_config_static_selectorELNS0_4arch9wavefront6targetE0EEEvSQ_.kd
    .uniform_work_group_size: 1
    .uses_dynamic_stack: false
    .vgpr_count:     0
    .vgpr_spill_count: 0
    .wavefront_size: 32
    .workgroup_processor_mode: 1
  - .args:
      - .offset:         0
        .size:           56
        .value_kind:     by_value
    .group_segment_fixed_size: 0
    .kernarg_segment_align: 8
    .kernarg_segment_size: 56
    .language:       OpenCL C
    .language_version:
      - 2
      - 0
    .max_flat_workgroup_size: 256
    .name:           _ZN7rocprim17ROCPRIM_400000_NS6detail17trampoline_kernelINS0_14default_configENS1_27lower_bound_config_selectorIiiEEZNS1_14transform_implILb0ES3_S5_N6thrust23THRUST_200600_302600_NS17counting_iteratorIiNS8_11use_defaultESA_SA_EENS8_6detail15normal_iteratorINS8_10device_ptrIiEEEEZNS1_13binary_searchIS3_S5_SG_SB_SG_NS1_21lower_bound_search_opENSC_16wrapped_functionINS0_4lessIvEEbEEEE10hipError_tPvRmT1_T2_T3_mmT4_T5_P12ihipStream_tbEUlRKiE_EESN_SR_SS_mST_SW_bEUlT_E_NS1_11comp_targetILNS1_3genE4ELNS1_11target_archE910ELNS1_3gpuE8ELNS1_3repE0EEENS1_30default_config_static_selectorELNS0_4arch9wavefront6targetE0EEEvSQ_
    .private_segment_fixed_size: 0
    .sgpr_count:     0
    .sgpr_spill_count: 0
    .symbol:         _ZN7rocprim17ROCPRIM_400000_NS6detail17trampoline_kernelINS0_14default_configENS1_27lower_bound_config_selectorIiiEEZNS1_14transform_implILb0ES3_S5_N6thrust23THRUST_200600_302600_NS17counting_iteratorIiNS8_11use_defaultESA_SA_EENS8_6detail15normal_iteratorINS8_10device_ptrIiEEEEZNS1_13binary_searchIS3_S5_SG_SB_SG_NS1_21lower_bound_search_opENSC_16wrapped_functionINS0_4lessIvEEbEEEE10hipError_tPvRmT1_T2_T3_mmT4_T5_P12ihipStream_tbEUlRKiE_EESN_SR_SS_mST_SW_bEUlT_E_NS1_11comp_targetILNS1_3genE4ELNS1_11target_archE910ELNS1_3gpuE8ELNS1_3repE0EEENS1_30default_config_static_selectorELNS0_4arch9wavefront6targetE0EEEvSQ_.kd
    .uniform_work_group_size: 1
    .uses_dynamic_stack: false
    .vgpr_count:     0
    .vgpr_spill_count: 0
    .wavefront_size: 32
    .workgroup_processor_mode: 1
  - .args:
      - .offset:         0
        .size:           56
        .value_kind:     by_value
    .group_segment_fixed_size: 0
    .kernarg_segment_align: 8
    .kernarg_segment_size: 56
    .language:       OpenCL C
    .language_version:
      - 2
      - 0
    .max_flat_workgroup_size: 64
    .name:           _ZN7rocprim17ROCPRIM_400000_NS6detail17trampoline_kernelINS0_14default_configENS1_27lower_bound_config_selectorIiiEEZNS1_14transform_implILb0ES3_S5_N6thrust23THRUST_200600_302600_NS17counting_iteratorIiNS8_11use_defaultESA_SA_EENS8_6detail15normal_iteratorINS8_10device_ptrIiEEEEZNS1_13binary_searchIS3_S5_SG_SB_SG_NS1_21lower_bound_search_opENSC_16wrapped_functionINS0_4lessIvEEbEEEE10hipError_tPvRmT1_T2_T3_mmT4_T5_P12ihipStream_tbEUlRKiE_EESN_SR_SS_mST_SW_bEUlT_E_NS1_11comp_targetILNS1_3genE3ELNS1_11target_archE908ELNS1_3gpuE7ELNS1_3repE0EEENS1_30default_config_static_selectorELNS0_4arch9wavefront6targetE0EEEvSQ_
    .private_segment_fixed_size: 0
    .sgpr_count:     0
    .sgpr_spill_count: 0
    .symbol:         _ZN7rocprim17ROCPRIM_400000_NS6detail17trampoline_kernelINS0_14default_configENS1_27lower_bound_config_selectorIiiEEZNS1_14transform_implILb0ES3_S5_N6thrust23THRUST_200600_302600_NS17counting_iteratorIiNS8_11use_defaultESA_SA_EENS8_6detail15normal_iteratorINS8_10device_ptrIiEEEEZNS1_13binary_searchIS3_S5_SG_SB_SG_NS1_21lower_bound_search_opENSC_16wrapped_functionINS0_4lessIvEEbEEEE10hipError_tPvRmT1_T2_T3_mmT4_T5_P12ihipStream_tbEUlRKiE_EESN_SR_SS_mST_SW_bEUlT_E_NS1_11comp_targetILNS1_3genE3ELNS1_11target_archE908ELNS1_3gpuE7ELNS1_3repE0EEENS1_30default_config_static_selectorELNS0_4arch9wavefront6targetE0EEEvSQ_.kd
    .uniform_work_group_size: 1
    .uses_dynamic_stack: false
    .vgpr_count:     0
    .vgpr_spill_count: 0
    .wavefront_size: 32
    .workgroup_processor_mode: 1
  - .args:
      - .offset:         0
        .size:           56
        .value_kind:     by_value
    .group_segment_fixed_size: 0
    .kernarg_segment_align: 8
    .kernarg_segment_size: 56
    .language:       OpenCL C
    .language_version:
      - 2
      - 0
    .max_flat_workgroup_size: 256
    .name:           _ZN7rocprim17ROCPRIM_400000_NS6detail17trampoline_kernelINS0_14default_configENS1_27lower_bound_config_selectorIiiEEZNS1_14transform_implILb0ES3_S5_N6thrust23THRUST_200600_302600_NS17counting_iteratorIiNS8_11use_defaultESA_SA_EENS8_6detail15normal_iteratorINS8_10device_ptrIiEEEEZNS1_13binary_searchIS3_S5_SG_SB_SG_NS1_21lower_bound_search_opENSC_16wrapped_functionINS0_4lessIvEEbEEEE10hipError_tPvRmT1_T2_T3_mmT4_T5_P12ihipStream_tbEUlRKiE_EESN_SR_SS_mST_SW_bEUlT_E_NS1_11comp_targetILNS1_3genE2ELNS1_11target_archE906ELNS1_3gpuE6ELNS1_3repE0EEENS1_30default_config_static_selectorELNS0_4arch9wavefront6targetE0EEEvSQ_
    .private_segment_fixed_size: 0
    .sgpr_count:     0
    .sgpr_spill_count: 0
    .symbol:         _ZN7rocprim17ROCPRIM_400000_NS6detail17trampoline_kernelINS0_14default_configENS1_27lower_bound_config_selectorIiiEEZNS1_14transform_implILb0ES3_S5_N6thrust23THRUST_200600_302600_NS17counting_iteratorIiNS8_11use_defaultESA_SA_EENS8_6detail15normal_iteratorINS8_10device_ptrIiEEEEZNS1_13binary_searchIS3_S5_SG_SB_SG_NS1_21lower_bound_search_opENSC_16wrapped_functionINS0_4lessIvEEbEEEE10hipError_tPvRmT1_T2_T3_mmT4_T5_P12ihipStream_tbEUlRKiE_EESN_SR_SS_mST_SW_bEUlT_E_NS1_11comp_targetILNS1_3genE2ELNS1_11target_archE906ELNS1_3gpuE6ELNS1_3repE0EEENS1_30default_config_static_selectorELNS0_4arch9wavefront6targetE0EEEvSQ_.kd
    .uniform_work_group_size: 1
    .uses_dynamic_stack: false
    .vgpr_count:     0
    .vgpr_spill_count: 0
    .wavefront_size: 32
    .workgroup_processor_mode: 1
  - .args:
      - .offset:         0
        .size:           56
        .value_kind:     by_value
    .group_segment_fixed_size: 0
    .kernarg_segment_align: 8
    .kernarg_segment_size: 56
    .language:       OpenCL C
    .language_version:
      - 2
      - 0
    .max_flat_workgroup_size: 128
    .name:           _ZN7rocprim17ROCPRIM_400000_NS6detail17trampoline_kernelINS0_14default_configENS1_27lower_bound_config_selectorIiiEEZNS1_14transform_implILb0ES3_S5_N6thrust23THRUST_200600_302600_NS17counting_iteratorIiNS8_11use_defaultESA_SA_EENS8_6detail15normal_iteratorINS8_10device_ptrIiEEEEZNS1_13binary_searchIS3_S5_SG_SB_SG_NS1_21lower_bound_search_opENSC_16wrapped_functionINS0_4lessIvEEbEEEE10hipError_tPvRmT1_T2_T3_mmT4_T5_P12ihipStream_tbEUlRKiE_EESN_SR_SS_mST_SW_bEUlT_E_NS1_11comp_targetILNS1_3genE10ELNS1_11target_archE1201ELNS1_3gpuE5ELNS1_3repE0EEENS1_30default_config_static_selectorELNS0_4arch9wavefront6targetE0EEEvSQ_
    .private_segment_fixed_size: 0
    .sgpr_count:     0
    .sgpr_spill_count: 0
    .symbol:         _ZN7rocprim17ROCPRIM_400000_NS6detail17trampoline_kernelINS0_14default_configENS1_27lower_bound_config_selectorIiiEEZNS1_14transform_implILb0ES3_S5_N6thrust23THRUST_200600_302600_NS17counting_iteratorIiNS8_11use_defaultESA_SA_EENS8_6detail15normal_iteratorINS8_10device_ptrIiEEEEZNS1_13binary_searchIS3_S5_SG_SB_SG_NS1_21lower_bound_search_opENSC_16wrapped_functionINS0_4lessIvEEbEEEE10hipError_tPvRmT1_T2_T3_mmT4_T5_P12ihipStream_tbEUlRKiE_EESN_SR_SS_mST_SW_bEUlT_E_NS1_11comp_targetILNS1_3genE10ELNS1_11target_archE1201ELNS1_3gpuE5ELNS1_3repE0EEENS1_30default_config_static_selectorELNS0_4arch9wavefront6targetE0EEEvSQ_.kd
    .uniform_work_group_size: 1
    .uses_dynamic_stack: false
    .vgpr_count:     0
    .vgpr_spill_count: 0
    .wavefront_size: 32
    .workgroup_processor_mode: 1
  - .args:
      - .offset:         0
        .size:           56
        .value_kind:     by_value
    .group_segment_fixed_size: 0
    .kernarg_segment_align: 8
    .kernarg_segment_size: 56
    .language:       OpenCL C
    .language_version:
      - 2
      - 0
    .max_flat_workgroup_size: 128
    .name:           _ZN7rocprim17ROCPRIM_400000_NS6detail17trampoline_kernelINS0_14default_configENS1_27lower_bound_config_selectorIiiEEZNS1_14transform_implILb0ES3_S5_N6thrust23THRUST_200600_302600_NS17counting_iteratorIiNS8_11use_defaultESA_SA_EENS8_6detail15normal_iteratorINS8_10device_ptrIiEEEEZNS1_13binary_searchIS3_S5_SG_SB_SG_NS1_21lower_bound_search_opENSC_16wrapped_functionINS0_4lessIvEEbEEEE10hipError_tPvRmT1_T2_T3_mmT4_T5_P12ihipStream_tbEUlRKiE_EESN_SR_SS_mST_SW_bEUlT_E_NS1_11comp_targetILNS1_3genE10ELNS1_11target_archE1200ELNS1_3gpuE4ELNS1_3repE0EEENS1_30default_config_static_selectorELNS0_4arch9wavefront6targetE0EEEvSQ_
    .private_segment_fixed_size: 0
    .sgpr_count:     0
    .sgpr_spill_count: 0
    .symbol:         _ZN7rocprim17ROCPRIM_400000_NS6detail17trampoline_kernelINS0_14default_configENS1_27lower_bound_config_selectorIiiEEZNS1_14transform_implILb0ES3_S5_N6thrust23THRUST_200600_302600_NS17counting_iteratorIiNS8_11use_defaultESA_SA_EENS8_6detail15normal_iteratorINS8_10device_ptrIiEEEEZNS1_13binary_searchIS3_S5_SG_SB_SG_NS1_21lower_bound_search_opENSC_16wrapped_functionINS0_4lessIvEEbEEEE10hipError_tPvRmT1_T2_T3_mmT4_T5_P12ihipStream_tbEUlRKiE_EESN_SR_SS_mST_SW_bEUlT_E_NS1_11comp_targetILNS1_3genE10ELNS1_11target_archE1200ELNS1_3gpuE4ELNS1_3repE0EEENS1_30default_config_static_selectorELNS0_4arch9wavefront6targetE0EEEvSQ_.kd
    .uniform_work_group_size: 1
    .uses_dynamic_stack: false
    .vgpr_count:     0
    .vgpr_spill_count: 0
    .wavefront_size: 32
    .workgroup_processor_mode: 1
  - .args:
      - .offset:         0
        .size:           56
        .value_kind:     by_value
      - .offset:         56
        .size:           4
        .value_kind:     hidden_block_count_x
      - .offset:         60
        .size:           4
        .value_kind:     hidden_block_count_y
      - .offset:         64
        .size:           4
        .value_kind:     hidden_block_count_z
      - .offset:         68
        .size:           2
        .value_kind:     hidden_group_size_x
      - .offset:         70
        .size:           2
        .value_kind:     hidden_group_size_y
      - .offset:         72
        .size:           2
        .value_kind:     hidden_group_size_z
      - .offset:         74
        .size:           2
        .value_kind:     hidden_remainder_x
      - .offset:         76
        .size:           2
        .value_kind:     hidden_remainder_y
      - .offset:         78
        .size:           2
        .value_kind:     hidden_remainder_z
      - .offset:         96
        .size:           8
        .value_kind:     hidden_global_offset_x
      - .offset:         104
        .size:           8
        .value_kind:     hidden_global_offset_y
      - .offset:         112
        .size:           8
        .value_kind:     hidden_global_offset_z
      - .offset:         120
        .size:           2
        .value_kind:     hidden_grid_dims
    .group_segment_fixed_size: 0
    .kernarg_segment_align: 8
    .kernarg_segment_size: 312
    .language:       OpenCL C
    .language_version:
      - 2
      - 0
    .max_flat_workgroup_size: 128
    .name:           _ZN7rocprim17ROCPRIM_400000_NS6detail17trampoline_kernelINS0_14default_configENS1_27lower_bound_config_selectorIiiEEZNS1_14transform_implILb0ES3_S5_N6thrust23THRUST_200600_302600_NS17counting_iteratorIiNS8_11use_defaultESA_SA_EENS8_6detail15normal_iteratorINS8_10device_ptrIiEEEEZNS1_13binary_searchIS3_S5_SG_SB_SG_NS1_21lower_bound_search_opENSC_16wrapped_functionINS0_4lessIvEEbEEEE10hipError_tPvRmT1_T2_T3_mmT4_T5_P12ihipStream_tbEUlRKiE_EESN_SR_SS_mST_SW_bEUlT_E_NS1_11comp_targetILNS1_3genE9ELNS1_11target_archE1100ELNS1_3gpuE3ELNS1_3repE0EEENS1_30default_config_static_selectorELNS0_4arch9wavefront6targetE0EEEvSQ_
    .private_segment_fixed_size: 0
    .sgpr_count:     18
    .sgpr_spill_count: 0
    .symbol:         _ZN7rocprim17ROCPRIM_400000_NS6detail17trampoline_kernelINS0_14default_configENS1_27lower_bound_config_selectorIiiEEZNS1_14transform_implILb0ES3_S5_N6thrust23THRUST_200600_302600_NS17counting_iteratorIiNS8_11use_defaultESA_SA_EENS8_6detail15normal_iteratorINS8_10device_ptrIiEEEEZNS1_13binary_searchIS3_S5_SG_SB_SG_NS1_21lower_bound_search_opENSC_16wrapped_functionINS0_4lessIvEEbEEEE10hipError_tPvRmT1_T2_T3_mmT4_T5_P12ihipStream_tbEUlRKiE_EESN_SR_SS_mST_SW_bEUlT_E_NS1_11comp_targetILNS1_3genE9ELNS1_11target_archE1100ELNS1_3gpuE3ELNS1_3repE0EEENS1_30default_config_static_selectorELNS0_4arch9wavefront6targetE0EEEvSQ_.kd
    .uniform_work_group_size: 1
    .uses_dynamic_stack: false
    .vgpr_count:     11
    .vgpr_spill_count: 0
    .wavefront_size: 32
    .workgroup_processor_mode: 1
  - .args:
      - .offset:         0
        .size:           56
        .value_kind:     by_value
    .group_segment_fixed_size: 0
    .kernarg_segment_align: 8
    .kernarg_segment_size: 56
    .language:       OpenCL C
    .language_version:
      - 2
      - 0
    .max_flat_workgroup_size: 256
    .name:           _ZN7rocprim17ROCPRIM_400000_NS6detail17trampoline_kernelINS0_14default_configENS1_27lower_bound_config_selectorIiiEEZNS1_14transform_implILb0ES3_S5_N6thrust23THRUST_200600_302600_NS17counting_iteratorIiNS8_11use_defaultESA_SA_EENS8_6detail15normal_iteratorINS8_10device_ptrIiEEEEZNS1_13binary_searchIS3_S5_SG_SB_SG_NS1_21lower_bound_search_opENSC_16wrapped_functionINS0_4lessIvEEbEEEE10hipError_tPvRmT1_T2_T3_mmT4_T5_P12ihipStream_tbEUlRKiE_EESN_SR_SS_mST_SW_bEUlT_E_NS1_11comp_targetILNS1_3genE8ELNS1_11target_archE1030ELNS1_3gpuE2ELNS1_3repE0EEENS1_30default_config_static_selectorELNS0_4arch9wavefront6targetE0EEEvSQ_
    .private_segment_fixed_size: 0
    .sgpr_count:     0
    .sgpr_spill_count: 0
    .symbol:         _ZN7rocprim17ROCPRIM_400000_NS6detail17trampoline_kernelINS0_14default_configENS1_27lower_bound_config_selectorIiiEEZNS1_14transform_implILb0ES3_S5_N6thrust23THRUST_200600_302600_NS17counting_iteratorIiNS8_11use_defaultESA_SA_EENS8_6detail15normal_iteratorINS8_10device_ptrIiEEEEZNS1_13binary_searchIS3_S5_SG_SB_SG_NS1_21lower_bound_search_opENSC_16wrapped_functionINS0_4lessIvEEbEEEE10hipError_tPvRmT1_T2_T3_mmT4_T5_P12ihipStream_tbEUlRKiE_EESN_SR_SS_mST_SW_bEUlT_E_NS1_11comp_targetILNS1_3genE8ELNS1_11target_archE1030ELNS1_3gpuE2ELNS1_3repE0EEENS1_30default_config_static_selectorELNS0_4arch9wavefront6targetE0EEEvSQ_.kd
    .uniform_work_group_size: 1
    .uses_dynamic_stack: false
    .vgpr_count:     0
    .vgpr_spill_count: 0
    .wavefront_size: 32
    .workgroup_processor_mode: 1
  - .args:
      - .offset:         0
        .size:           32
        .value_kind:     by_value
      - .offset:         32
        .size:           8
        .value_kind:     by_value
      - .offset:         40
        .size:           8
        .value_kind:     by_value
    .group_segment_fixed_size: 0
    .kernarg_segment_align: 8
    .kernarg_segment_size: 48
    .language:       OpenCL C
    .language_version:
      - 2
      - 0
    .max_flat_workgroup_size: 256
    .name:           _ZN6thrust23THRUST_200600_302600_NS11hip_rocprim14__parallel_for6kernelILj256ENS1_11__transform17unary_transform_fINS0_20permutation_iteratorINS0_6detail15normal_iteratorINS0_10device_ptrIcEEEENS8_INS9_IiEEEEEESB_NS4_14no_stencil_tagENS1_8identityENS4_21always_true_predicateEEElLj1EEEvT0_T1_SK_
    .private_segment_fixed_size: 0
    .sgpr_count:     18
    .sgpr_spill_count: 0
    .symbol:         _ZN6thrust23THRUST_200600_302600_NS11hip_rocprim14__parallel_for6kernelILj256ENS1_11__transform17unary_transform_fINS0_20permutation_iteratorINS0_6detail15normal_iteratorINS0_10device_ptrIcEEEENS8_INS9_IiEEEEEESB_NS4_14no_stencil_tagENS1_8identityENS4_21always_true_predicateEEElLj1EEEvT0_T1_SK_.kd
    .uniform_work_group_size: 1
    .uses_dynamic_stack: false
    .vgpr_count:     4
    .vgpr_spill_count: 0
    .wavefront_size: 32
    .workgroup_processor_mode: 1
  - .args:
      - .offset:         0
        .size:           16
        .value_kind:     by_value
      - .offset:         16
        .size:           8
        .value_kind:     by_value
      - .offset:         24
        .size:           8
        .value_kind:     by_value
    .group_segment_fixed_size: 0
    .kernarg_segment_align: 8
    .kernarg_segment_size: 32
    .language:       OpenCL C
    .language_version:
      - 2
      - 0
    .max_flat_workgroup_size: 256
    .name:           _ZN6thrust23THRUST_200600_302600_NS11hip_rocprim14__parallel_for6kernelILj256ENS1_20__uninitialized_copy7functorINS0_6detail15normal_iteratorINS0_10device_ptrIcEEEENS0_7pointerIcNS1_3tagENS0_11use_defaultESD_EEEEmLj1EEEvT0_T1_SH_
    .private_segment_fixed_size: 0
    .sgpr_count:     18
    .sgpr_spill_count: 0
    .symbol:         _ZN6thrust23THRUST_200600_302600_NS11hip_rocprim14__parallel_for6kernelILj256ENS1_20__uninitialized_copy7functorINS0_6detail15normal_iteratorINS0_10device_ptrIcEEEENS0_7pointerIcNS1_3tagENS0_11use_defaultESD_EEEEmLj1EEEvT0_T1_SH_.kd
    .uniform_work_group_size: 1
    .uses_dynamic_stack: false
    .vgpr_count:     5
    .vgpr_spill_count: 0
    .wavefront_size: 32
    .workgroup_processor_mode: 1
amdhsa.target:   amdgcn-amd-amdhsa--gfx1100
amdhsa.version:
  - 1
  - 2
...

	.end_amdgpu_metadata
